;; amdgpu-corpus repo=ROCm/rocFFT kind=compiled arch=gfx906 opt=O3
	.text
	.amdgcn_target "amdgcn-amd-amdhsa--gfx906"
	.amdhsa_code_object_version 6
	.protected	bluestein_single_back_len832_dim1_sp_op_CI_CI ; -- Begin function bluestein_single_back_len832_dim1_sp_op_CI_CI
	.globl	bluestein_single_back_len832_dim1_sp_op_CI_CI
	.p2align	8
	.type	bluestein_single_back_len832_dim1_sp_op_CI_CI,@function
bluestein_single_back_len832_dim1_sp_op_CI_CI: ; @bluestein_single_back_len832_dim1_sp_op_CI_CI
; %bb.0:
	s_load_dwordx4 s[0:3], s[4:5], 0x28
	v_mul_u32_u24_e32 v1, 0x277, v0
	v_add_u32_sdwa v32, s6, v1 dst_sel:DWORD dst_unused:UNUSED_PAD src0_sel:DWORD src1_sel:WORD_1
	v_mov_b32_e32 v33, 0
	s_waitcnt lgkmcnt(0)
	v_cmp_gt_u64_e32 vcc, s[0:1], v[32:33]
	s_and_saveexec_b64 s[0:1], vcc
	s_cbranch_execz .LBB0_15
; %bb.1:
	s_load_dwordx2 s[12:13], s[4:5], 0x0
	s_load_dwordx2 s[14:15], s[4:5], 0x38
	s_movk_i32 s0, 0x68
	v_mul_lo_u16_sdwa v1, v1, s0 dst_sel:DWORD dst_unused:UNUSED_PAD src0_sel:WORD_1 src1_sel:DWORD
	v_sub_u16_e32 v70, v0, v1
	v_cmp_gt_u16_e32 vcc, 64, v70
	v_lshlrev_b32_e32 v69, 3, v70
	v_or_b32_e32 v71, 64, v70
	s_and_saveexec_b64 s[6:7], vcc
	s_cbranch_execz .LBB0_3
; %bb.2:
	s_load_dwordx2 s[0:1], s[4:5], 0x18
	v_mov_b32_e32 v8, s3
	v_or_b32_e32 v11, 0xc0, v70
	v_or_b32_e32 v51, 0x300, v70
	;; [unrolled: 1-line block ×3, first 2 shown]
	s_waitcnt lgkmcnt(0)
	s_load_dwordx4 s[8:11], s[0:1], 0x0
	v_lshlrev_b32_e32 v27, 3, v51
	v_or_b32_e32 v31, 0x180, v70
	v_or_b32_e32 v57, 0x2c0, v70
	s_waitcnt lgkmcnt(0)
	v_mad_u64_u32 v[0:1], s[0:1], s10, v32, 0
	v_mad_u64_u32 v[2:3], s[0:1], s8, v70, 0
	;; [unrolled: 1-line block ×5, first 2 shown]
	v_mov_b32_e32 v1, v4
	v_lshlrev_b64 v[0:1], 3, v[0:1]
	v_mov_b32_e32 v3, v5
	v_add_co_u32_e64 v55, s[0:1], s2, v0
	v_addc_co_u32_e64 v56, s[0:1], v8, v1, s[0:1]
	v_mov_b32_e32 v0, v7
	v_or_b32_e32 v8, 0x80, v70
	v_mad_u64_u32 v[0:1], s[0:1], s9, v71, v[0:1]
	v_mad_u64_u32 v[4:5], s[0:1], s8, v8, 0
	v_lshlrev_b64 v[2:3], 3, v[2:3]
	v_mov_b32_e32 v7, v0
	v_add_co_u32_e64 v1, s[0:1], v55, v2
	v_mov_b32_e32 v0, v5
	v_addc_co_u32_e64 v2, s[0:1], v56, v3, s[0:1]
	v_mad_u64_u32 v[8:9], s[0:1], s9, v8, v[0:1]
	v_mad_u64_u32 v[9:10], s[0:1], s8, v11, 0
	v_lshlrev_b64 v[6:7], 3, v[6:7]
	v_mov_b32_e32 v5, v8
	v_add_co_u32_e64 v6, s[0:1], v55, v6
	v_mov_b32_e32 v0, v10
	v_addc_co_u32_e64 v7, s[0:1], v56, v7, s[0:1]
	v_mad_u64_u32 v[10:11], s[0:1], s9, v11, v[0:1]
	global_load_dwordx2 v[11:12], v69, s[12:13] offset:512
	global_load_dwordx2 v[13:14], v69, s[12:13] offset:1024
	v_lshlrev_b64 v[3:4], 3, v[4:5]
	v_lshlrev_b64 v[8:9], 3, v[9:10]
	v_add_co_u32_e64 v3, s[0:1], v55, v3
	v_addc_co_u32_e64 v4, s[0:1], v56, v4, s[0:1]
	v_add_co_u32_e64 v8, s[0:1], v55, v8
	v_addc_co_u32_e64 v9, s[0:1], v56, v9, s[0:1]
	v_or_b32_e32 v10, 0x100, v70
	global_load_dwordx2 v[15:16], v[1:2], off
	global_load_dwordx2 v[17:18], v[6:7], off
	global_load_dwordx2 v[19:20], v[3:4], off
	global_load_dwordx2 v[21:22], v[8:9], off
	v_mad_u64_u32 v[8:9], s[0:1], s8, v10, 0
	global_load_dwordx2 v[0:1], v69, s[12:13] offset:1536
	global_load_dwordx2 v[2:3], v69, s[12:13] offset:2048
	;; [unrolled: 1-line block ×4, first 2 shown]
	global_load_dwordx2 v[23:24], v69, s[12:13]
	global_load_dwordx2 v[25:26], v27, s[12:13]
	v_mad_u64_u32 v[27:28], s[0:1], s8, v29, 0
	v_mad_u64_u32 v[9:10], s[0:1], s9, v10, v[9:10]
	v_mov_b32_e32 v10, v28
	v_lshlrev_b64 v[8:9], 3, v[8:9]
	s_waitcnt vmcnt(11)
	v_mad_u64_u32 v[28:29], s[0:1], s9, v29, v[10:11]
	v_mad_u64_u32 v[29:30], s[0:1], s8, v31, 0
	v_add_co_u32_e64 v8, s[0:1], v55, v8
	v_mov_b32_e32 v10, v30
	v_addc_co_u32_e64 v9, s[0:1], v56, v9, s[0:1]
	v_mad_u64_u32 v[30:31], s[0:1], s9, v31, v[10:11]
	v_or_b32_e32 v31, 0x1c0, v70
	v_mad_u64_u32 v[33:34], s[0:1], s8, v31, 0
	v_lshlrev_b64 v[27:28], 3, v[27:28]
	v_lshlrev_b64 v[29:30], 3, v[29:30]
	v_add_co_u32_e64 v27, s[0:1], v55, v27
	v_mov_b32_e32 v10, v34
	v_addc_co_u32_e64 v28, s[0:1], v56, v28, s[0:1]
	v_mad_u64_u32 v[34:35], s[0:1], s9, v31, v[10:11]
	v_add_co_u32_e64 v29, s[0:1], v55, v29
	v_or_b32_e32 v31, 0x200, v70
	v_addc_co_u32_e64 v30, s[0:1], v56, v30, s[0:1]
	v_mad_u64_u32 v[35:36], s[0:1], s8, v31, 0
	v_lshlrev_b64 v[33:34], 3, v[33:34]
	v_add_co_u32_e64 v33, s[0:1], v55, v33
	v_mov_b32_e32 v10, v36
	v_addc_co_u32_e64 v34, s[0:1], v56, v34, s[0:1]
	v_mad_u64_u32 v[36:37], s[0:1], s9, v31, v[10:11]
	global_load_dwordx2 v[37:38], v[8:9], off
	global_load_dwordx2 v[39:40], v[27:28], off
	;; [unrolled: 1-line block ×4, first 2 shown]
	global_load_dwordx2 v[45:46], v69, s[12:13] offset:3584
	v_lshlrev_b64 v[8:9], 3, v[35:36]
	v_or_b32_e32 v35, 0x240, v70
	v_mad_u64_u32 v[27:28], s[0:1], s8, v35, 0
	v_add_co_u32_e64 v8, s[0:1], v55, v8
	v_mov_b32_e32 v10, v28
	v_addc_co_u32_e64 v9, s[0:1], v56, v9, s[0:1]
	v_mad_u64_u32 v[28:29], s[0:1], s9, v35, v[10:11]
	v_lshlrev_b32_e32 v10, 3, v31
	v_or_b32_e32 v31, 0x280, v70
	v_mad_u64_u32 v[33:34], s[0:1], s8, v31, 0
	v_lshlrev_b64 v[27:28], 3, v[27:28]
	v_lshlrev_b32_e32 v47, 3, v35
	global_load_dwordx2 v[29:30], v10, s[12:13]
	v_add_co_u32_e64 v27, s[0:1], v55, v27
	global_load_dwordx2 v[47:48], v47, s[12:13]
	v_mov_b32_e32 v10, v34
	v_addc_co_u32_e64 v28, s[0:1], v56, v28, s[0:1]
	v_mad_u64_u32 v[34:35], s[0:1], s9, v31, v[10:11]
	v_mad_u64_u32 v[35:36], s[0:1], s8, v57, 0
	v_lshlrev_b64 v[33:34], 3, v[33:34]
	global_load_dwordx2 v[8:9], v[8:9], off
	v_mov_b32_e32 v10, v36
	global_load_dwordx2 v[27:28], v[27:28], off
	v_mad_u64_u32 v[49:50], s[0:1], s9, v57, v[10:11]
	v_add_co_u32_e64 v33, s[0:1], v55, v33
	v_addc_co_u32_e64 v34, s[0:1], v56, v34, s[0:1]
	global_load_dwordx2 v[33:34], v[33:34], off
	v_mov_b32_e32 v36, v49
	v_mad_u64_u32 v[49:50], s[0:1], s8, v51, 0
	v_lshlrev_b64 v[35:36], 3, v[35:36]
	v_lshlrev_b32_e32 v31, 3, v31
	v_add_co_u32_e64 v35, s[0:1], v55, v35
	v_mov_b32_e32 v10, v50
	v_addc_co_u32_e64 v36, s[0:1], v56, v36, s[0:1]
	v_mad_u64_u32 v[50:51], s[0:1], s9, v51, v[10:11]
	v_lshlrev_b32_e32 v10, 3, v57
	global_load_dwordx2 v[51:52], v31, s[12:13]
	global_load_dwordx2 v[53:54], v[35:36], off
	v_lshlrev_b64 v[49:50], 3, v[49:50]
	global_load_dwordx2 v[35:36], v10, s[12:13]
	v_add_co_u32_e64 v49, s[0:1], v55, v49
	v_addc_co_u32_e64 v50, s[0:1], v56, v50, s[0:1]
	global_load_dwordx2 v[49:50], v[49:50], off
	s_waitcnt vmcnt(15)
	v_mul_f32_e32 v10, v15, v24
	v_mul_f32_e32 v57, v18, v12
	;; [unrolled: 1-line block ×3, first 2 shown]
	v_fma_f32 v56, v16, v23, -v10
	v_mul_f32_e32 v10, v20, v14
	v_mul_f32_e32 v14, v19, v14
	v_fma_f32 v58, v18, v11, -v12
	v_mul_f32_e32 v12, v22, v1
	v_mul_f32_e32 v1, v21, v1
	v_fmac_f32_e32 v57, v17, v11
	v_fmac_f32_e32 v10, v19, v13
	v_fma_f32 v11, v20, v13, -v14
	v_fmac_f32_e32 v12, v21, v0
	v_fma_f32 v13, v22, v0, -v1
	s_waitcnt vmcnt(13)
	v_mul_f32_e32 v0, v38, v3
	v_mul_f32_e32 v1, v37, v3
	;; [unrolled: 1-line block ×3, first 2 shown]
	v_fmac_f32_e32 v0, v37, v2
	v_fma_f32 v1, v38, v2, -v1
	s_waitcnt vmcnt(12)
	v_mul_f32_e32 v2, v40, v5
	v_mul_f32_e32 v3, v39, v5
	v_fmac_f32_e32 v55, v15, v23
	v_fmac_f32_e32 v2, v39, v4
	v_fma_f32 v3, v40, v4, -v3
	ds_write2st64_b64 v69, v[55:56], v[57:58] offset1:1
	ds_write2st64_b64 v69, v[10:11], v[12:13] offset0:2 offset1:3
	ds_write2st64_b64 v69, v[0:1], v[2:3] offset0:4 offset1:5
	s_waitcnt vmcnt(11)
	v_mul_f32_e32 v0, v42, v7
	v_mul_f32_e32 v1, v41, v7
	s_waitcnt vmcnt(9)
	v_mul_f32_e32 v2, v44, v46
	v_mul_f32_e32 v3, v43, v46
	v_fmac_f32_e32 v0, v41, v6
	v_fma_f32 v1, v42, v6, -v1
	v_fmac_f32_e32 v2, v43, v45
	v_fma_f32 v3, v44, v45, -v3
	ds_write2st64_b64 v69, v[0:1], v[2:3] offset0:6 offset1:7
	s_waitcnt vmcnt(6)
	v_mul_f32_e32 v0, v9, v30
	v_mul_f32_e32 v1, v8, v30
	s_waitcnt vmcnt(5)
	v_mul_f32_e32 v2, v28, v48
	v_mul_f32_e32 v3, v27, v48
	v_fmac_f32_e32 v0, v8, v29
	v_fma_f32 v1, v9, v29, -v1
	v_fmac_f32_e32 v2, v27, v47
	v_fma_f32 v3, v28, v47, -v3
	ds_write2st64_b64 v69, v[0:1], v[2:3] offset0:8 offset1:9
	s_waitcnt vmcnt(3)
	v_mul_f32_e32 v0, v34, v52
	v_mul_f32_e32 v1, v33, v52
	v_fmac_f32_e32 v0, v33, v51
	s_waitcnt vmcnt(1)
	v_mul_f32_e32 v2, v54, v36
	v_mul_f32_e32 v3, v53, v36
	v_fma_f32 v1, v34, v51, -v1
	v_fmac_f32_e32 v2, v53, v35
	v_fma_f32 v3, v54, v35, -v3
	ds_write2st64_b64 v69, v[0:1], v[2:3] offset0:10 offset1:11
	s_waitcnt vmcnt(0)
	v_mul_f32_e32 v0, v50, v26
	v_mul_f32_e32 v1, v49, v26
	v_fmac_f32_e32 v0, v49, v25
	v_fma_f32 v1, v50, v25, -v1
	ds_write_b64 v69, v[0:1] offset:6144
.LBB0_3:
	s_or_b64 exec, exec, s[6:7]
	s_load_dwordx2 s[0:1], s[4:5], 0x20
	s_load_dwordx2 s[2:3], s[4:5], 0x8
	v_mov_b32_e32 v8, 0
	v_mov_b32_e32 v9, 0
	s_waitcnt lgkmcnt(0)
	s_barrier
	s_waitcnt lgkmcnt(0)
                                        ; implicit-def: $vgpr14
                                        ; implicit-def: $vgpr16
                                        ; implicit-def: $vgpr28
                                        ; implicit-def: $vgpr35
                                        ; implicit-def: $vgpr26
                                        ; implicit-def: $vgpr22
	s_and_saveexec_b64 s[4:5], vcc
	s_cbranch_execz .LBB0_5
; %bb.4:
	ds_read2st64_b64 v[8:11], v69 offset1:1
	ds_read2st64_b64 v[20:23], v69 offset0:2 offset1:3
	ds_read2st64_b64 v[24:27], v69 offset0:4 offset1:5
	;; [unrolled: 1-line block ×5, first 2 shown]
	ds_read_b64 v[35:36], v69 offset:6144
.LBB0_5:
	s_or_b64 exec, exec, s[4:5]
	s_waitcnt lgkmcnt(0)
	v_sub_f32_e32 v61, v11, v36
	v_mul_f32_e32 v40, 0xbeedf032, v61
	v_sub_f32_e32 v76, v21, v31
	v_add_f32_e32 v37, v35, v10
	v_sub_f32_e32 v65, v10, v35
	v_mov_b32_e32 v0, v40
	v_mul_f32_e32 v44, 0xbf52af12, v76
	v_add_f32_e32 v38, v36, v11
	s_mov_b32 s6, 0x3f62ad3f
	v_mul_f32_e32 v42, 0xbeedf032, v65
	v_fmac_f32_e32 v0, 0x3f62ad3f, v37
	v_add_f32_e32 v39, v30, v20
	v_sub_f32_e32 v80, v20, v30
	v_mov_b32_e32 v2, v44
	v_add_f32_e32 v0, v0, v8
	v_fma_f32 v1, v38, s6, -v42
	s_mov_b32 s7, 0x3f116cb1
	v_add_f32_e32 v41, v31, v21
	v_mul_f32_e32 v46, 0xbf52af12, v80
	v_fmac_f32_e32 v2, 0x3f116cb1, v39
	v_sub_f32_e32 v81, v23, v29
	v_add_f32_e32 v1, v1, v9
	v_add_f32_e32 v0, v2, v0
	v_fma_f32 v2, v41, s7, -v46
	v_mul_f32_e32 v48, 0xbf7e222b, v81
	v_add_f32_e32 v1, v2, v1
	v_add_f32_e32 v43, v28, v22
	v_mov_b32_e32 v2, v48
	v_sub_f32_e32 v88, v22, v28
	v_fmac_f32_e32 v2, 0x3df6dbef, v43
	s_mov_b32 s8, 0x3df6dbef
	v_add_f32_e32 v45, v29, v23
	v_mul_f32_e32 v50, 0xbf7e222b, v88
	v_sub_f32_e32 v89, v25, v19
	v_add_f32_e32 v0, v2, v0
	v_fma_f32 v2, v45, s8, -v50
	v_mul_f32_e32 v52, 0xbf6f5d39, v89
	v_add_f32_e32 v1, v2, v1
	v_add_f32_e32 v47, v18, v24
	v_mov_b32_e32 v2, v52
	v_sub_f32_e32 v92, v24, v18
	v_fmac_f32_e32 v2, 0xbeb58ec6, v47
	s_mov_b32 s9, 0xbeb58ec6
	v_add_f32_e32 v49, v19, v25
	v_mul_f32_e32 v54, 0xbf6f5d39, v92
	v_sub_f32_e32 v97, v27, v17
	;; [unrolled: 12-line block ×3, first 2 shown]
	v_add_f32_e32 v0, v2, v0
	v_fma_f32 v2, v53, s10, -v58
	v_mul_f32_e32 v59, 0xbe750f2a, v99
	v_add_f32_e32 v1, v2, v1
	v_add_f32_e32 v55, v14, v12
	v_mov_b32_e32 v2, v59
	v_sub_f32_e32 v100, v12, v14
	s_mov_b32 s11, 0xbf788fa5
	v_fmac_f32_e32 v2, 0xbf788fa5, v55
	v_add_f32_e32 v57, v15, v13
	v_mul_f32_e32 v60, 0xbe750f2a, v100
	v_add_f32_e32 v33, v2, v0
	v_fma_f32 v0, v57, s11, -v60
	v_mul_f32_e32 v62, 0xbf52af12, v61
	v_add_f32_e32 v34, v0, v1
	v_mov_b32_e32 v0, v62
	v_mul_f32_e32 v63, 0xbf6f5d39, v76
	v_fmac_f32_e32 v0, 0x3f116cb1, v37
	v_mov_b32_e32 v1, v63
	v_add_f32_e32 v0, v0, v8
	v_fmac_f32_e32 v1, 0xbeb58ec6, v39
	v_mul_f32_e32 v67, 0xbf52af12, v65
	v_add_f32_e32 v0, v1, v0
	v_fma_f32 v1, v38, s7, -v67
	v_mul_f32_e32 v72, 0xbf6f5d39, v80
	v_add_f32_e32 v1, v1, v9
	v_fma_f32 v2, v41, s9, -v72
	v_mul_f32_e32 v64, 0xbe750f2a, v81
	v_add_f32_e32 v1, v2, v1
	v_mov_b32_e32 v2, v64
	v_fmac_f32_e32 v2, 0xbf788fa5, v43
	v_mul_f32_e32 v75, 0xbe750f2a, v88
	v_add_f32_e32 v0, v2, v0
	v_fma_f32 v2, v45, s11, -v75
	v_mul_f32_e32 v66, 0x3f29c268, v89
	v_add_f32_e32 v1, v2, v1
	v_mov_b32_e32 v2, v66
	v_fmac_f32_e32 v2, 0xbf3f9e67, v47
	;; [unrolled: 7-line block ×4, first 2 shown]
	v_mul_f32_e32 v79, 0x3eedf032, v100
	v_mul_f32_e32 v86, 0xbf7e222b, v61
	v_fma_f32 v3, v57, s6, -v79
	v_add_f32_e32 v2, v2, v0
	v_mov_b32_e32 v0, v86
	v_mul_f32_e32 v87, 0xbe750f2a, v76
	v_add_f32_e32 v3, v3, v1
	v_fmac_f32_e32 v0, 0x3df6dbef, v37
	v_mov_b32_e32 v1, v87
	v_add_f32_e32 v0, v0, v8
	v_fmac_f32_e32 v1, 0xbf788fa5, v39
	v_mul_f32_e32 v85, 0x3f6f5d39, v81
	v_add_f32_e32 v0, v1, v0
	v_mov_b32_e32 v1, v85
	v_fmac_f32_e32 v1, 0xbeb58ec6, v43
	v_mul_f32_e32 v82, 0x3eedf032, v89
	v_add_f32_e32 v0, v1, v0
	v_mov_b32_e32 v1, v82
	;; [unrolled: 4-line block ×4, first 2 shown]
	v_fmac_f32_e32 v1, 0xbf3f9e67, v55
	v_mul_f32_e32 v96, 0xbf7e222b, v65
	v_add_f32_e32 v0, v1, v0
	v_fma_f32 v1, v38, s8, -v96
	v_mul_f32_e32 v95, 0xbe750f2a, v80
	v_add_f32_e32 v1, v1, v9
	v_fma_f32 v4, v41, s11, -v95
	;; [unrolled: 3-line block ×6, first 2 shown]
	v_mul_f32_e32 v101, 0xbf6f5d39, v61
	v_add_f32_e32 v1, v4, v1
	v_mov_b32_e32 v4, v101
	v_mul_f32_e32 v102, 0x3f29c268, v76
	v_fmac_f32_e32 v4, 0xbeb58ec6, v37
	v_mov_b32_e32 v5, v102
	v_add_f32_e32 v4, v4, v8
	v_fmac_f32_e32 v5, 0xbf3f9e67, v39
	v_mul_f32_e32 v107, 0xbf6f5d39, v65
	v_add_f32_e32 v4, v5, v4
	v_fma_f32 v5, v38, s9, -v107
	v_mul_f32_e32 v108, 0x3f29c268, v80
	v_add_f32_e32 v5, v5, v9
	v_fma_f32 v6, v41, s10, -v108
	v_mul_f32_e32 v103, 0x3eedf032, v81
	v_add_f32_e32 v5, v6, v5
	v_mov_b32_e32 v6, v103
	v_fmac_f32_e32 v6, 0x3f62ad3f, v43
	v_mul_f32_e32 v109, 0x3eedf032, v88
	v_add_f32_e32 v4, v6, v4
	v_fma_f32 v6, v45, s6, -v109
	v_mul_f32_e32 v104, 0xbf7e222b, v89
	v_add_f32_e32 v5, v6, v5
	v_mov_b32_e32 v6, v104
	v_fmac_f32_e32 v6, 0x3df6dbef, v47
	;; [unrolled: 7-line block ×4, first 2 shown]
	v_mul_f32_e32 v112, 0x3f52af12, v100
	v_mul_f32_e32 v114, 0xbf29c268, v61
	v_fma_f32 v7, v57, s7, -v112
	v_add_f32_e32 v6, v6, v4
	v_mov_b32_e32 v4, v114
	v_mul_f32_e32 v118, 0x3f7e222b, v76
	v_add_f32_e32 v7, v7, v5
	v_fmac_f32_e32 v4, 0xbf3f9e67, v37
	v_mov_b32_e32 v5, v118
	v_add_f32_e32 v4, v4, v8
	v_fmac_f32_e32 v5, 0x3df6dbef, v39
	v_mul_f32_e32 v115, 0xbf52af12, v81
	v_add_f32_e32 v4, v5, v4
	v_mov_b32_e32 v5, v115
	v_fmac_f32_e32 v5, 0x3f116cb1, v43
	v_mul_f32_e32 v116, 0x3e750f2a, v89
	v_add_f32_e32 v4, v5, v4
	v_mov_b32_e32 v5, v116
	;; [unrolled: 4-line block ×4, first 2 shown]
	v_fmac_f32_e32 v5, 0xbeb58ec6, v55
	v_mul_f32_e32 v123, 0xbf29c268, v65
	v_add_f32_e32 v4, v5, v4
	v_fma_f32 v5, v38, s10, -v123
	v_mul_f32_e32 v124, 0x3f7e222b, v80
	v_add_f32_e32 v5, v5, v9
	v_fma_f32 v73, v41, s8, -v124
	;; [unrolled: 3-line block ×6, first 2 shown]
	v_add_f32_e32 v5, v73, v5
	v_mul_lo_u16_e32 v73, 13, v70
	s_barrier
	s_and_saveexec_b64 s[4:5], vcc
	s_cbranch_execz .LBB0_7
; %bb.6:
	v_mul_f32_e32 v125, 0xbe750f2a, v65
	v_mov_b32_e32 v65, v125
	v_mul_f32_e32 v126, 0x3eedf032, v80
	v_fmac_f32_e32 v65, 0xbf788fa5, v38
	v_mov_b32_e32 v80, v126
	v_add_f32_e32 v65, v65, v9
	v_fmac_f32_e32 v80, 0x3f62ad3f, v41
	v_mul_f32_e32 v127, 0xbf29c268, v88
	v_add_f32_e32 v65, v80, v65
	v_mov_b32_e32 v80, v127
	v_fmac_f32_e32 v80, 0xbf3f9e67, v45
	v_mul_f32_e32 v92, 0x3f52af12, v92
	v_add_f32_e32 v65, v80, v65
	v_mov_b32_e32 v80, v92
	;; [unrolled: 4-line block ×3, first 2 shown]
	v_fmac_f32_e32 v80, 0xbeb58ec6, v53
	v_mul_f32_e32 v61, 0xbe750f2a, v61
	v_add_f32_e32 v65, v80, v65
	v_fma_f32 v80, v37, s11, -v61
	v_mul_f32_e32 v76, 0x3eedf032, v76
	v_add_f32_e32 v80, v80, v8
	v_fma_f32 v88, v39, s6, -v76
	;; [unrolled: 3-line block ×5, first 2 shown]
	v_mul_f32_e32 v100, 0x3f7e222b, v100
	v_add_f32_e32 v80, v81, v80
	v_mov_b32_e32 v81, v100
	v_fmac_f32_e32 v81, 0x3df6dbef, v57
	v_mul_f32_e32 v99, 0x3f7e222b, v99
	v_add_f32_e32 v81, v81, v65
	v_fma_f32 v65, v55, s8, -v99
	v_add_f32_e32 v80, v65, v80
	v_mul_f32_e32 v65, 0xbf3f9e67, v38
	v_add_f32_e32 v65, v123, v65
	v_mul_f32_e32 v88, 0x3df6dbef, v41
	v_mul_f32_e32 v89, 0xbf3f9e67, v37
	v_add_f32_e32 v88, v124, v88
	v_add_f32_e32 v65, v65, v9
	v_sub_f32_e32 v89, v89, v114
	v_mul_f32_e32 v97, 0x3df6dbef, v39
	v_add_f32_e32 v65, v88, v65
	v_mul_f32_e32 v88, 0x3f116cb1, v45
	v_sub_f32_e32 v97, v97, v118
	v_add_f32_e32 v89, v89, v8
	v_add_f32_e32 v88, v122, v88
	;; [unrolled: 1-line block ×3, first 2 shown]
	v_mul_f32_e32 v97, 0x3f116cb1, v43
	v_add_f32_e32 v65, v88, v65
	v_mul_f32_e32 v88, 0xbf788fa5, v49
	v_sub_f32_e32 v97, v97, v115
	v_add_f32_e32 v88, v121, v88
	v_add_f32_e32 v89, v97, v89
	v_mul_f32_e32 v97, 0xbf788fa5, v47
	v_add_f32_e32 v65, v88, v65
	v_mul_f32_e32 v88, 0x3f62ad3f, v53
	v_sub_f32_e32 v97, v97, v116
	v_add_f32_e32 v88, v120, v88
	v_add_f32_e32 v89, v97, v89
	;; [unrolled: 6-line block ×3, first 2 shown]
	v_mul_f32_e32 v89, 0xbeb58ec6, v55
	v_sub_f32_e32 v98, v89, v113
	v_add_f32_e32 v89, v88, v65
	v_mul_f32_e32 v65, 0xbeb58ec6, v38
	v_add_f32_e32 v88, v98, v97
	v_add_f32_e32 v65, v107, v65
	v_mul_f32_e32 v97, 0xbf3f9e67, v41
	v_mul_f32_e32 v98, 0xbeb58ec6, v37
	v_add_f32_e32 v97, v108, v97
	v_add_f32_e32 v65, v65, v9
	v_sub_f32_e32 v98, v98, v101
	v_mul_f32_e32 v101, 0xbf3f9e67, v39
	v_add_f32_e32 v65, v97, v65
	v_mul_f32_e32 v97, 0x3f62ad3f, v45
	v_sub_f32_e32 v101, v101, v102
	v_add_f32_e32 v98, v98, v8
	v_add_f32_e32 v97, v109, v97
	;; [unrolled: 1-line block ×3, first 2 shown]
	v_mul_f32_e32 v101, 0x3f62ad3f, v43
	v_add_f32_e32 v65, v97, v65
	v_mul_f32_e32 v97, 0x3df6dbef, v49
	v_sub_f32_e32 v101, v101, v103
	v_add_f32_e32 v97, v110, v97
	v_add_f32_e32 v98, v101, v98
	v_mul_f32_e32 v101, 0x3df6dbef, v47
	v_add_f32_e32 v65, v97, v65
	v_mul_f32_e32 v97, 0xbf788fa5, v53
	v_sub_f32_e32 v101, v101, v104
	v_add_f32_e32 v97, v111, v97
	v_add_f32_e32 v98, v101, v98
	v_mul_f32_e32 v101, 0xbf788fa5, v51
	v_add_f32_e32 v65, v97, v65
	v_mul_f32_e32 v97, 0x3f116cb1, v57
	v_sub_f32_e32 v101, v101, v105
	v_mul_f32_e32 v109, 0x3df6dbef, v38
	v_add_f32_e32 v97, v112, v97
	v_add_f32_e32 v101, v101, v98
	v_mul_f32_e32 v98, 0x3f116cb1, v55
	v_sub_f32_e32 v106, v98, v106
	v_mul_f32_e32 v111, 0xbf788fa5, v41
	v_add_f32_e32 v98, v97, v65
	v_add_f32_e32 v65, v96, v109
	v_add_f32_e32 v95, v95, v111
	v_add_f32_e32 v65, v65, v9
	v_add_f32_e32 v65, v95, v65
	v_mul_f32_e32 v95, 0xbeb58ec6, v45
	v_add_f32_e32 v94, v94, v95
	v_mul_f32_e32 v113, 0x3f62ad3f, v38
	v_add_f32_e32 v65, v94, v65
	v_mul_f32_e32 v94, 0x3f62ad3f, v49
	v_mul_f32_e32 v102, 0x3f116cb1, v41
	v_add_f32_e32 v93, v93, v94
	v_add_f32_e32 v42, v42, v113
	;; [unrolled: 1-line block ×4, first 2 shown]
	v_mul_f32_e32 v108, 0x3df6dbef, v37
	v_add_f32_e32 v97, v106, v101
	v_mul_f32_e32 v106, 0x3df6dbef, v45
	v_add_f32_e32 v65, v93, v65
	;; [unrolled: 2-line block ×3, first 2 shown]
	v_add_f32_e32 v46, v46, v102
	v_add_f32_e32 v11, v21, v11
	v_add_f32_e32 v10, v20, v10
	v_mul_f32_e32 v105, 0xbf788fa5, v39
	v_mul_f32_e32 v95, 0xbeb58ec6, v43
	v_add_f32_e32 v91, v91, v93
	v_mul_f32_e32 v93, 0xbeb58ec6, v49
	v_sub_f32_e32 v86, v108, v86
	v_add_f32_e32 v42, v46, v42
	v_add_f32_e32 v46, v50, v106
	;; [unrolled: 1-line block ×4, first 2 shown]
	v_sub_f32_e32 v87, v105, v87
	v_add_f32_e32 v86, v86, v8
	v_sub_f32_e32 v85, v95, v85
	v_mul_f32_e32 v95, 0xbf3f9e67, v53
	v_add_f32_e32 v42, v46, v42
	v_add_f32_e32 v46, v54, v93
	;; [unrolled: 1-line block ×4, first 2 shown]
	v_mul_f32_e32 v114, 0x3f62ad3f, v37
	v_mul_f32_e32 v107, 0x3f116cb1, v38
	;; [unrolled: 1-line block ×3, first 2 shown]
	v_add_f32_e32 v86, v87, v86
	v_mul_f32_e32 v111, 0xbf788fa5, v57
	v_add_f32_e32 v42, v46, v42
	v_add_f32_e32 v46, v58, v95
	;; [unrolled: 1-line block ×4, first 2 shown]
	v_mul_f32_e32 v115, 0x3f116cb1, v37
	v_mul_f32_e32 v110, 0x3f116cb1, v39
	v_add_f32_e32 v85, v85, v86
	v_sub_f32_e32 v82, v105, v82
	v_add_f32_e32 v67, v67, v107
	v_add_f32_e32 v42, v46, v42
	;; [unrolled: 1-line block ×3, first 2 shown]
	v_sub_f32_e32 v40, v114, v40
	v_add_f32_e32 v11, v13, v11
	v_add_f32_e32 v10, v12, v10
	v_fma_f32 v12, v38, s11, -v125
	v_mul_f32_e32 v103, 0xbeb58ec6, v39
	v_mul_f32_e32 v104, 0xbeb58ec6, v41
	;; [unrolled: 1-line block ×3, first 2 shown]
	v_add_f32_e32 v82, v82, v85
	v_mul_f32_e32 v85, 0x3f116cb1, v51
	v_add_f32_e32 v67, v67, v9
	v_sub_f32_e32 v62, v115, v62
	v_add_f32_e32 v60, v46, v42
	v_add_f32_e32 v40, v40, v8
	v_sub_f32_e32 v42, v110, v44
	v_add_f32_e32 v11, v15, v11
	v_add_f32_e32 v10, v14, v10
	;; [unrolled: 1-line block ×3, first 2 shown]
	v_fma_f32 v12, v41, s6, -v126
	v_fmac_f32_e32 v61, 0xbf788fa5, v37
	v_mul_f32_e32 v96, 0xbf788fa5, v43
	v_mul_f32_e32 v109, 0xbf788fa5, v45
	;; [unrolled: 1-line block ×3, first 2 shown]
	v_add_f32_e32 v65, v91, v65
	v_mul_f32_e32 v91, 0xbf3f9e67, v57
	v_sub_f32_e32 v83, v85, v83
	v_add_f32_e32 v72, v72, v104
	v_add_f32_e32 v62, v62, v8
	v_sub_f32_e32 v63, v103, v63
	v_add_f32_e32 v40, v42, v40
	v_sub_f32_e32 v42, v101, v48
	v_add_f32_e32 v11, v17, v11
	v_add_f32_e32 v10, v16, v10
	;; [unrolled: 1-line block ×3, first 2 shown]
	v_fma_f32 v12, v45, s10, -v127
	v_add_f32_e32 v8, v61, v8
	v_fmac_f32_e32 v76, 0x3f62ad3f, v39
	v_add_f32_e32 v90, v90, v91
	v_mul_f32_e32 v91, 0xbf3f9e67, v47
	v_mul_f32_e32 v108, 0xbf3f9e67, v49
	;; [unrolled: 1-line block ×3, first 2 shown]
	v_add_f32_e32 v82, v83, v82
	v_mul_f32_e32 v83, 0xbf3f9e67, v55
	v_add_f32_e32 v67, v72, v67
	v_add_f32_e32 v72, v75, v109
	v_add_f32_e32 v62, v63, v62
	v_sub_f32_e32 v63, v96, v64
	v_add_f32_e32 v40, v42, v40
	v_sub_f32_e32 v42, v94, v52
	v_add_f32_e32 v11, v19, v11
	v_add_f32_e32 v10, v18, v10
	;; [unrolled: 1-line block ×3, first 2 shown]
	v_fma_f32 v12, v49, s7, -v92
	v_add_f32_e32 v8, v76, v8
	v_fmac_f32_e32 v129, 0xbf3f9e67, v43
	v_mul_f32_e32 v86, 0x3df6dbef, v51
	v_mul_f32_e32 v105, 0x3df6dbef, v53
	;; [unrolled: 1-line block ×3, first 2 shown]
	v_sub_f32_e32 v84, v83, v84
	v_add_f32_e32 v67, v72, v67
	v_add_f32_e32 v72, v77, v108
	;; [unrolled: 1-line block ×3, first 2 shown]
	v_sub_f32_e32 v63, v91, v66
	v_add_f32_e32 v40, v42, v40
	v_sub_f32_e32 v42, v87, v56
	v_add_f32_e32 v11, v29, v11
	v_add_f32_e32 v10, v28, v10
	;; [unrolled: 1-line block ×3, first 2 shown]
	v_fma_f32 v12, v53, s9, -v128
	v_add_f32_e32 v8, v129, v8
	v_fmac_f32_e32 v130, 0x3f116cb1, v47
	v_add_f32_e32 v83, v90, v65
	v_add_f32_e32 v82, v84, v82
	v_mul_f32_e32 v84, 0x3f62ad3f, v55
	v_mul_f32_e32 v65, 0x3f62ad3f, v57
	v_add_f32_e32 v67, v72, v67
	v_add_f32_e32 v72, v78, v105
	;; [unrolled: 1-line block ×3, first 2 shown]
	v_sub_f32_e32 v63, v86, v68
	v_add_f32_e32 v40, v42, v40
	v_sub_f32_e32 v42, v85, v59
	v_add_f32_e32 v11, v31, v11
	v_add_f32_e32 v10, v30, v10
	;; [unrolled: 1-line block ×3, first 2 shown]
	v_fma_f32 v12, v57, s8, -v100
	v_add_f32_e32 v8, v130, v8
	v_fmac_f32_e32 v131, 0xbeb58ec6, v51
	v_add_f32_e32 v67, v72, v67
	v_add_f32_e32 v65, v79, v65
	;; [unrolled: 1-line block ×3, first 2 shown]
	v_sub_f32_e32 v63, v84, v74
	v_add_f32_e32 v59, v42, v40
	v_add_f32_e32 v11, v36, v11
	;; [unrolled: 1-line block ×5, first 2 shown]
	v_fmac_f32_e32 v99, 0x3df6dbef, v55
	v_lshlrev_b32_e32 v12, 3, v73
	v_add_f32_e32 v65, v65, v67
	v_add_f32_e32 v64, v63, v62
	;; [unrolled: 1-line block ×3, first 2 shown]
	ds_write2_b64 v12, v[10:11], v[59:60] offset1:1
	ds_write2_b64 v12, v[64:65], v[82:83] offset0:2 offset1:3
	ds_write2_b64 v12, v[97:98], v[88:89] offset0:4 offset1:5
	;; [unrolled: 1-line block ×5, first 2 shown]
	ds_write_b64 v12, v[33:34] offset:96
.LBB0_7:
	s_or_b64 exec, exec, s[4:5]
	s_load_dwordx4 s[4:7], s[0:1], 0x0
	s_movk_i32 s0, 0x4f
	v_add_u16_e32 v47, 0x68, v70
	v_mul_lo_u16_sdwa v39, v70, s0 dst_sel:DWORD dst_unused:UNUSED_PAD src0_sel:BYTE_0 src1_sel:DWORD
	v_mul_lo_u16_sdwa v48, v47, s0 dst_sel:DWORD dst_unused:UNUSED_PAD src0_sel:BYTE_0 src1_sel:DWORD
	v_lshrrev_b16_e32 v22, 10, v39
	v_lshrrev_b16_e32 v40, 10, v48
	v_mul_lo_u16_e32 v10, 13, v22
	v_mul_lo_u16_e32 v11, 13, v40
	v_add_u32_e32 v9, 0xd0, v70
	v_add_u32_e32 v8, 0x138, v70
	v_sub_u16_e32 v10, v70, v10
	v_sub_u16_e32 v11, v47, v11
	s_movk_i32 s0, 0x4ec5
	v_and_b32_e32 v23, 0xff, v10
	v_and_b32_e32 v41, 0xff, v11
	v_mul_u32_u24_sdwa v51, v9, s0 dst_sel:DWORD dst_unused:UNUSED_PAD src0_sel:WORD_0 src1_sel:DWORD
	v_mul_u32_u24_sdwa v55, v8, s0 dst_sel:DWORD dst_unused:UNUSED_PAD src0_sel:WORD_0 src1_sel:DWORD
	v_lshlrev_b32_e32 v10, 3, v23
	v_lshlrev_b32_e32 v11, 3, v41
	v_lshrrev_b32_e32 v42, 18, v51
	v_lshrrev_b32_e32 v44, 18, v55
	s_waitcnt lgkmcnt(0)
	s_barrier
	v_mul_lo_u16_e32 v12, 13, v42
	global_load_dwordx2 v[30:31], v10, s[2:3]
	global_load_dwordx2 v[28:29], v11, s[2:3]
	v_mul_lo_u16_e32 v10, 13, v44
	v_sub_u16_e32 v43, v9, v12
	v_sub_u16_e32 v45, v8, v10
	v_lshlrev_b32_e32 v12, 3, v43
	v_lshlrev_b32_e32 v10, 3, v45
	global_load_dwordx2 v[26:27], v12, s[2:3]
	global_load_dwordx2 v[24:25], v10, s[2:3]
	v_mov_b32_e32 v10, 3
	v_lshlrev_b32_sdwa v72, v10, v70 dst_sel:DWORD dst_unused:UNUSED_PAD src0_sel:DWORD src1_sel:WORD_0
	v_add_u32_e32 v90, 0xc00, v72
	ds_read2_b64 v[10:13], v72 offset1:104
	v_add_u32_e32 v88, 0x400, v72
	v_add_u32_e32 v89, 0x1000, v72
	ds_read2_b64 v[14:17], v90 offset0:32 offset1:136
	ds_read2_b64 v[18:21], v88 offset0:80 offset1:184
	;; [unrolled: 1-line block ×3, first 2 shown]
	v_mul_u32_u24_e32 v22, 26, v22
	v_mul_u32_u24_e32 v40, 26, v40
	v_mad_legacy_u16 v42, v42, 26, v43
	v_mad_legacy_u16 v43, v44, 26, v45
	v_add_lshl_u32 v77, v22, v23, 3
	v_add_lshl_u32 v76, v40, v41, 3
	v_lshlrev_b32_e32 v75, 3, v42
	v_lshlrev_b32_e32 v74, 3, v43
	s_waitcnt vmcnt(0) lgkmcnt(0)
	s_barrier
	s_movk_i32 s0, 0xffcc
	v_add_co_u32_e64 v49, s[0:1], s0, v70
	v_addc_co_u32_e64 v50, s[0:1], 0, -1, s[0:1]
	v_cmp_gt_u16_e64 s[0:1], 52, v70
	v_mov_b32_e32 v61, s3
	s_movk_i32 s8, 0x68
	v_lshlrev_b32_e32 v65, 3, v70
	v_mul_f32_e32 v22, v15, v31
	v_mul_f32_e32 v23, v14, v31
	;; [unrolled: 1-line block ×4, first 2 shown]
	v_fma_f32 v14, v14, v30, -v22
	v_fmac_f32_e32 v23, v15, v30
	v_fmac_f32_e32 v41, v17, v28
	v_mul_f32_e32 v42, v36, v27
	v_mul_f32_e32 v43, v35, v27
	;; [unrolled: 1-line block ×4, first 2 shown]
	v_fma_f32 v16, v16, v28, -v40
	v_fma_f32 v22, v35, v26, -v42
	v_fmac_f32_e32 v43, v36, v26
	v_fma_f32 v35, v37, v24, -v44
	v_fmac_f32_e32 v45, v38, v24
	v_sub_f32_e32 v14, v10, v14
	v_sub_f32_e32 v15, v11, v23
	;; [unrolled: 1-line block ×8, first 2 shown]
	v_fma_f32 v10, v10, 2.0, -v14
	v_fma_f32 v11, v11, 2.0, -v15
	;; [unrolled: 1-line block ×8, first 2 shown]
	ds_write2_b64 v77, v[10:11], v[14:15] offset1:13
	ds_write2_b64 v76, v[12:13], v[16:17] offset1:13
	;; [unrolled: 1-line block ×4, first 2 shown]
	v_lshrrev_b16_e32 v10, 11, v39
	v_lshrrev_b16_e32 v13, 11, v48
	v_mul_lo_u16_e32 v11, 26, v10
	v_mul_lo_u16_e32 v14, 26, v13
	v_lshrrev_b32_e32 v16, 19, v51
	v_sub_u16_e32 v11, v70, v11
	v_sub_u16_e32 v14, v47, v14
	v_mul_lo_u16_e32 v17, 26, v16
	v_and_b32_e32 v11, 0xff, v11
	v_and_b32_e32 v14, 0xff, v14
	v_sub_u16_e32 v17, v9, v17
	v_lshlrev_b32_e32 v12, 3, v11
	v_lshlrev_b32_e32 v15, 3, v14
	;; [unrolled: 1-line block ×3, first 2 shown]
	v_lshrrev_b32_e32 v19, 19, v55
	s_waitcnt lgkmcnt(0)
	s_barrier
	global_load_dwordx2 v[41:42], v12, s[2:3] offset:104
	global_load_dwordx2 v[39:40], v15, s[2:3] offset:104
	;; [unrolled: 1-line block ×3, first 2 shown]
	v_mul_lo_u16_e32 v12, 26, v19
	v_sub_u16_e32 v12, v8, v12
	v_lshlrev_b32_e32 v15, 3, v12
	global_load_dwordx2 v[35:36], v15, s[2:3] offset:104
	v_mul_u32_u24_e32 v10, 52, v10
	v_mul_u32_u24_e32 v13, 52, v13
	v_mad_legacy_u16 v15, v16, 52, v17
	v_mad_legacy_u16 v12, v19, 52, v12
	v_add_lshl_u32 v81, v10, v11, 3
	v_add_lshl_u32 v80, v13, v14, 3
	v_lshlrev_b32_e32 v79, 3, v15
	v_lshlrev_b32_e32 v78, 3, v12
	ds_read2_b64 v[10:13], v72 offset1:104
	ds_read2_b64 v[14:17], v90 offset0:32 offset1:136
	ds_read2_b64 v[18:21], v88 offset0:80 offset1:184
	;; [unrolled: 1-line block ×3, first 2 shown]
	s_waitcnt vmcnt(0) lgkmcnt(0)
	s_barrier
	v_mul_f32_e32 v22, v15, v42
	v_mul_f32_e32 v23, v14, v42
	;; [unrolled: 1-line block ×8, first 2 shown]
	v_fma_f32 v14, v14, v41, -v22
	v_fmac_f32_e32 v23, v15, v41
	v_fmac_f32_e32 v53, v17, v39
	v_fma_f32 v16, v16, v39, -v52
	v_fma_f32 v22, v43, v37, -v54
	v_fmac_f32_e32 v56, v44, v37
	v_fma_f32 v43, v45, v35, -v57
	v_fmac_f32_e32 v58, v46, v35
	v_sub_f32_e32 v14, v10, v14
	v_sub_f32_e32 v15, v11, v23
	;; [unrolled: 1-line block ×8, first 2 shown]
	v_fma_f32 v10, v10, 2.0, -v14
	v_fma_f32 v11, v11, 2.0, -v15
	;; [unrolled: 1-line block ×8, first 2 shown]
	ds_write2_b64 v81, v[10:11], v[14:15] offset1:26
	ds_write2_b64 v80, v[12:13], v[16:17] offset1:26
	;; [unrolled: 1-line block ×4, first 2 shown]
	v_cndmask_b32_e64 v11, v50, 0, s[0:1]
	v_cndmask_b32_e64 v10, v49, v70, s[0:1]
	v_lshrrev_b16_e32 v13, 12, v48
	v_lshlrev_b64 v[11:12], 3, v[10:11]
	v_mul_lo_u16_e32 v14, 52, v13
	v_lshrrev_b32_e32 v16, 20, v51
	v_sub_u16_e32 v14, v47, v14
	v_mul_lo_u16_e32 v17, 52, v16
	v_add_co_u32_e64 v11, s[0:1], s2, v11
	v_and_b32_e32 v14, 0xff, v14
	v_sub_u16_e32 v17, v9, v17
	v_addc_co_u32_e64 v12, s[0:1], v61, v12, s[0:1]
	v_lshlrev_b32_e32 v15, 3, v14
	v_lshlrev_b32_e32 v18, 3, v17
	v_lshrrev_b32_e32 v19, 20, v55
	s_waitcnt lgkmcnt(0)
	s_barrier
	global_load_dwordx2 v[49:50], v[11:12], off offset:312
	global_load_dwordx2 v[45:46], v18, s[2:3] offset:312
	v_mul_lo_u16_e32 v11, 52, v19
	global_load_dwordx2 v[47:48], v15, s[2:3] offset:312
	v_sub_u16_e32 v11, v8, v11
	v_lshlrev_b32_e32 v12, 3, v11
	global_load_dwordx2 v[43:44], v12, s[2:3] offset:312
	v_mov_b32_e32 v12, 0x68
	v_cmp_lt_u16_e64 s[0:1], 51, v70
	v_cndmask_b32_e64 v12, 0, v12, s[0:1]
	v_add_lshl_u32 v87, v10, v12, 3
	v_mul_u32_u24_e32 v10, 0x68, v13
	v_mad_legacy_u16 v12, v16, s8, v17
	v_mad_legacy_u16 v11, v19, s8, v11
	v_lshrrev_b32_e32 v56, 21, v51
	v_add_lshl_u32 v86, v10, v14, 3
	v_lshlrev_b32_e32 v85, 3, v12
	v_lshlrev_b32_e32 v84, 3, v11
	ds_read2_b64 v[10:13], v72 offset1:104
	ds_read2_b64 v[14:17], v90 offset0:32 offset1:136
	ds_read2_b64 v[18:21], v88 offset0:80 offset1:184
	;; [unrolled: 1-line block ×3, first 2 shown]
	s_waitcnt vmcnt(0) lgkmcnt(0)
	s_barrier
	s_movk_i32 s8, 0x1000
	v_mul_f32_e32 v22, v15, v50
	v_mul_f32_e32 v23, v14, v50
	;; [unrolled: 1-line block ×8, first 2 shown]
	v_fma_f32 v14, v14, v49, -v22
	v_fmac_f32_e32 v23, v15, v49
	v_fma_f32 v16, v16, v47, -v57
	v_fmac_f32_e32 v58, v17, v47
	;; [unrolled: 2-line block ×4, first 2 shown]
	v_sub_f32_e32 v14, v10, v14
	v_sub_f32_e32 v15, v11, v23
	v_sub_f32_e32 v16, v12, v16
	v_sub_f32_e32 v17, v13, v58
	v_sub_f32_e32 v22, v18, v22
	v_sub_f32_e32 v23, v19, v60
	v_sub_f32_e32 v51, v20, v51
	v_sub_f32_e32 v52, v21, v63
	v_fma_f32 v10, v10, 2.0, -v14
	v_fma_f32 v11, v11, 2.0, -v15
	;; [unrolled: 1-line block ×8, first 2 shown]
	ds_write2_b64 v87, v[10:11], v[14:15] offset1:52
	ds_write2_b64 v86, v[12:13], v[16:17] offset1:52
	;; [unrolled: 1-line block ×4, first 2 shown]
	v_mul_lo_u16_e32 v10, 0x68, v56
	v_sub_u16_e32 v9, v9, v10
	v_lshlrev_b32_e32 v82, 3, v9
	v_lshrrev_b32_e32 v9, 21, v55
	v_mul_lo_u16_e32 v9, 0x68, v9
	v_sub_u16_e32 v8, v8, v9
	v_lshlrev_b32_e32 v83, 3, v8
	s_waitcnt lgkmcnt(0)
	s_barrier
	global_load_dwordx2 v[53:54], v65, s[2:3] offset:728
	global_load_dwordx2 v[51:52], v82, s[2:3] offset:728
	;; [unrolled: 1-line block ×3, first 2 shown]
	ds_read2_b64 v[8:11], v72 offset1:104
	ds_read2_b64 v[12:15], v90 offset0:32 offset1:136
	ds_read2_b64 v[16:19], v88 offset0:80 offset1:184
	;; [unrolled: 1-line block ×3, first 2 shown]
	v_add_u32_e32 v57, 0xc00, v82
	v_add_u32_e32 v58, 0x1000, v83
	s_waitcnt vmcnt(0) lgkmcnt(0)
	s_barrier
	v_mul_f32_e32 v59, v13, v54
	v_mul_f32_e32 v60, v12, v54
	;; [unrolled: 1-line block ×8, first 2 shown]
	v_fma_f32 v12, v12, v53, -v59
	v_fmac_f32_e32 v60, v13, v53
	v_fma_f32 v14, v14, v53, -v62
	v_fmac_f32_e32 v63, v15, v53
	;; [unrolled: 2-line block ×4, first 2 shown]
	v_sub_f32_e32 v12, v8, v12
	v_sub_f32_e32 v13, v9, v60
	v_sub_f32_e32 v14, v10, v14
	v_sub_f32_e32 v15, v11, v63
	v_sub_f32_e32 v20, v16, v20
	v_sub_f32_e32 v21, v17, v66
	v_sub_f32_e32 v22, v18, v22
	v_sub_f32_e32 v23, v19, v68
	v_fma_f32 v8, v8, 2.0, -v12
	v_fma_f32 v9, v9, 2.0, -v13
	;; [unrolled: 1-line block ×8, first 2 shown]
	ds_write2_b64 v72, v[8:9], v[12:13] offset1:104
	ds_write2_b64 v88, v[10:11], v[14:15] offset0:80 offset1:184
	ds_write2_b64 v57, v[16:17], v[20:21] offset0:32 offset1:136
	;; [unrolled: 1-line block ×3, first 2 shown]
	s_waitcnt lgkmcnt(0)
	s_barrier
	global_load_dwordx2 v[57:58], v65, s[2:3] offset:1560
	global_load_dwordx2 v[59:60], v65, s[2:3] offset:2392
	ds_read2_b64 v[8:11], v72 offset1:104
	ds_read2_b64 v[12:15], v90 offset0:32 offset1:136
	ds_read2_b64 v[16:19], v88 offset0:80 offset1:184
	;; [unrolled: 1-line block ×3, first 2 shown]
	v_add_co_u32_e64 v66, s[0:1], s2, v65
	v_addc_co_u32_e64 v67, s[0:1], 0, v61, s[0:1]
	s_waitcnt vmcnt(0) lgkmcnt(0)
	s_barrier
	v_mul_f32_e32 v61, v13, v58
	v_mul_f32_e32 v62, v12, v58
	;; [unrolled: 1-line block ×8, first 2 shown]
	v_fma_f32 v12, v12, v57, -v61
	v_fmac_f32_e32 v62, v13, v57
	v_fma_f32 v14, v14, v59, -v63
	v_fmac_f32_e32 v64, v15, v59
	;; [unrolled: 2-line block ×4, first 2 shown]
	v_sub_f32_e32 v12, v8, v12
	v_sub_f32_e32 v13, v9, v62
	;; [unrolled: 1-line block ×8, first 2 shown]
	v_fma_f32 v8, v8, 2.0, -v12
	v_fma_f32 v9, v9, 2.0, -v13
	;; [unrolled: 1-line block ×8, first 2 shown]
	ds_write2_b64 v88, v[12:13], v[14:15] offset0:80 offset1:184
	ds_write2_b64 v89, v[20:21], v[22:23] offset0:112 offset1:216
	ds_write2_b64 v72, v[8:9], v[10:11] offset1:104
	ds_write2_b64 v90, v[16:17], v[18:19] offset0:32 offset1:136
	v_add_co_u32_e64 v8, s[0:1], s8, v66
	v_addc_co_u32_e64 v9, s[0:1], 0, v67, s[0:1]
	s_waitcnt lgkmcnt(0)
	s_barrier
	global_load_dwordx2 v[61:62], v65, s[2:3] offset:3224
	global_load_dwordx2 v[63:64], v65, s[2:3] offset:4056
	s_nop 0
	global_load_dwordx2 v[65:66], v[8:9], off offset:792
	global_load_dwordx2 v[67:68], v[8:9], off offset:1624
	ds_read2_b64 v[8:11], v90 offset0:32 offset1:136
	ds_read2_b64 v[91:94], v72 offset1:104
	ds_read2_b64 v[95:98], v88 offset0:80 offset1:184
	ds_read2_b64 v[12:15], v89 offset0:112 offset1:216
	s_waitcnt vmcnt(3) lgkmcnt(3)
	v_mul_f32_e32 v16, v9, v62
	v_mul_f32_e32 v17, v8, v62
	s_waitcnt vmcnt(2)
	v_mul_f32_e32 v18, v11, v64
	v_mul_f32_e32 v19, v10, v64
	s_waitcnt vmcnt(1) lgkmcnt(0)
	v_mul_f32_e32 v20, v13, v66
	v_mul_f32_e32 v21, v12, v66
	s_waitcnt vmcnt(0)
	v_mul_f32_e32 v22, v15, v68
	v_mul_f32_e32 v23, v14, v68
	v_fma_f32 v8, v8, v61, -v16
	v_fmac_f32_e32 v17, v9, v61
	v_fma_f32 v9, v10, v63, -v18
	v_fmac_f32_e32 v19, v11, v63
	;; [unrolled: 2-line block ×4, first 2 shown]
	v_sub_f32_e32 v10, v91, v8
	v_sub_f32_e32 v11, v92, v17
	;; [unrolled: 1-line block ×8, first 2 shown]
	v_fma_f32 v8, v91, 2.0, -v10
	v_fma_f32 v9, v92, 2.0, -v11
	;; [unrolled: 1-line block ×8, first 2 shown]
	ds_write2_b64 v90, v[10:11], v[14:15] offset0:32 offset1:136
	ds_write2_b64 v89, v[18:19], v[22:23] offset0:112 offset1:216
	ds_write2_b64 v72, v[8:9], v[12:13] offset1:104
	ds_write2_b64 v88, v[16:17], v[20:21] offset0:80 offset1:184
	s_waitcnt lgkmcnt(0)
	s_barrier
	s_and_saveexec_b64 s[0:1], vcc
	s_cbranch_execz .LBB0_9
; %bb.8:
	s_add_u32 s2, s12, 0x1a00
	s_addc_u32 s3, s13, 0
	v_or_b32_e32 v90, 0x1000, v69
	global_load_dwordx2 v[88:89], v69, s[2:3]
	global_load_dwordx2 v[112:113], v69, s[2:3] offset:512
	global_load_dwordx2 v[114:115], v69, s[2:3] offset:1024
	;; [unrolled: 1-line block ×7, first 2 shown]
	global_load_dwordx2 v[126:127], v90, s[2:3]
	v_or_b32_e32 v90, 0x1200, v69
	global_load_dwordx2 v[128:129], v90, s[2:3]
	v_or_b32_e32 v90, 0x1400, v69
	;; [unrolled: 2-line block ×4, first 2 shown]
	global_load_dwordx2 v[134:135], v90, s[2:3]
	ds_read_b64 v[90:91], v72
	s_waitcnt vmcnt(12) lgkmcnt(0)
	v_mul_f32_e32 v92, v91, v89
	v_mul_f32_e32 v93, v90, v89
	v_fma_f32 v92, v90, v88, -v92
	v_fmac_f32_e32 v93, v91, v88
	ds_write_b64 v72, v[92:93]
	ds_read2st64_b64 v[88:91], v69 offset0:1 offset1:2
	ds_read2st64_b64 v[92:95], v69 offset0:3 offset1:4
	;; [unrolled: 1-line block ×6, first 2 shown]
	s_waitcnt vmcnt(11) lgkmcnt(5)
	v_mul_f32_e32 v137, v89, v113
	v_mul_f32_e32 v136, v88, v113
	s_waitcnt vmcnt(10)
	v_mul_f32_e32 v138, v91, v115
	v_mul_f32_e32 v113, v90, v115
	s_waitcnt vmcnt(9) lgkmcnt(4)
	v_mul_f32_e32 v139, v93, v117
	v_mul_f32_e32 v115, v92, v117
	s_waitcnt vmcnt(8)
	v_mul_f32_e32 v140, v95, v119
	v_mul_f32_e32 v117, v94, v119
	;; [unrolled: 6-line block ×6, first 2 shown]
	v_fma_f32 v135, v88, v112, -v137
	v_fmac_f32_e32 v136, v89, v112
	v_fma_f32 v112, v90, v114, -v138
	v_fmac_f32_e32 v113, v91, v114
	;; [unrolled: 2-line block ×12, first 2 shown]
	ds_write2st64_b64 v69, v[135:136], v[112:113] offset0:1 offset1:2
	ds_write2st64_b64 v69, v[114:115], v[116:117] offset0:3 offset1:4
	;; [unrolled: 1-line block ×6, first 2 shown]
.LBB0_9:
	s_or_b64 exec, exec, s[0:1]
	s_waitcnt lgkmcnt(0)
	s_barrier
	s_and_saveexec_b64 s[0:1], vcc
	s_cbranch_execz .LBB0_11
; %bb.10:
	ds_read2st64_b64 v[8:11], v72 offset1:1
	ds_read2st64_b64 v[12:15], v72 offset0:2 offset1:3
	ds_read2st64_b64 v[16:19], v72 offset0:4 offset1:5
	;; [unrolled: 1-line block ×5, first 2 shown]
	ds_read_b64 v[33:34], v72 offset:6144
.LBB0_11:
	s_or_b64 exec, exec, s[0:1]
	s_waitcnt lgkmcnt(0)
	s_barrier
	s_and_saveexec_b64 s[0:1], vcc
	s_cbranch_execz .LBB0_13
; %bb.12:
	v_add_f32_e32 v98, v34, v11
	v_mul_f32_e32 v100, 0xbf788fa5, v98
	v_add_f32_e32 v99, v3, v13
	v_sub_f32_e32 v101, v10, v33
	v_mov_b32_e32 v88, v100
	v_mul_f32_e32 v102, 0x3f62ad3f, v99
	v_fmac_f32_e32 v88, 0x3e750f2a, v101
	v_sub_f32_e32 v103, v12, v2
	v_mov_b32_e32 v89, v102
	v_add_f32_e32 v104, v1, v15
	v_add_f32_e32 v88, v9, v88
	v_fmac_f32_e32 v89, 0xbeedf032, v103
	v_mul_f32_e32 v105, 0xbf3f9e67, v104
	v_add_f32_e32 v88, v89, v88
	v_sub_f32_e32 v106, v14, v0
	v_mov_b32_e32 v89, v105
	v_add_f32_e32 v107, v7, v17
	v_fmac_f32_e32 v89, 0x3f29c268, v106
	v_mul_f32_e32 v108, 0x3f116cb1, v107
	v_add_f32_e32 v88, v89, v88
	v_sub_f32_e32 v109, v16, v6
	v_mov_b32_e32 v89, v108
	;; [unrolled: 6-line block ×4, first 2 shown]
	v_sub_f32_e32 v117, v11, v34
	v_fmac_f32_e32 v89, 0xbf7e222b, v115
	v_mul_f32_e32 v118, 0xbe750f2a, v117
	v_sub_f32_e32 v120, v13, v3
	v_add_f32_e32 v89, v89, v88
	v_add_f32_e32 v116, v33, v10
	v_mov_b32_e32 v88, v118
	v_mul_f32_e32 v121, 0x3eedf032, v120
	v_fmac_f32_e32 v88, 0xbf788fa5, v116
	v_add_f32_e32 v119, v2, v12
	v_mov_b32_e32 v90, v121
	v_sub_f32_e32 v123, v15, v1
	v_add_f32_e32 v88, v8, v88
	v_fmac_f32_e32 v90, 0x3f62ad3f, v119
	v_mul_f32_e32 v124, 0xbf29c268, v123
	v_add_f32_e32 v88, v90, v88
	v_add_f32_e32 v122, v0, v14
	v_mov_b32_e32 v90, v124
	v_sub_f32_e32 v126, v17, v7
	v_fmac_f32_e32 v90, 0xbf3f9e67, v122
	v_mul_f32_e32 v127, 0x3f52af12, v126
	v_add_f32_e32 v88, v90, v88
	v_add_f32_e32 v125, v6, v16
	v_mov_b32_e32 v90, v127
	v_sub_f32_e32 v129, v19, v5
	;; [unrolled: 6-line block ×3, first 2 shown]
	v_fmac_f32_e32 v90, 0xbeb58ec6, v128
	v_mul_f32_e32 v133, 0x3f7e222b, v132
	v_add_f32_e32 v88, v90, v88
	v_add_f32_e32 v131, v22, v20
	v_mov_b32_e32 v90, v133
	v_fmac_f32_e32 v90, 0x3df6dbef, v131
	v_mul_f32_e32 v134, 0xbf3f9e67, v98
	v_add_f32_e32 v88, v90, v88
	v_mov_b32_e32 v90, v134
	v_mul_f32_e32 v135, 0x3df6dbef, v99
	v_fmac_f32_e32 v90, 0x3f29c268, v101
	v_mov_b32_e32 v91, v135
	v_add_f32_e32 v90, v9, v90
	v_fmac_f32_e32 v91, 0xbf7e222b, v103
	v_mul_f32_e32 v136, 0x3f116cb1, v104
	v_add_f32_e32 v90, v91, v90
	v_mov_b32_e32 v91, v136
	v_fmac_f32_e32 v91, 0x3f52af12, v106
	v_mul_f32_e32 v137, 0xbf788fa5, v107
	v_add_f32_e32 v90, v91, v90
	v_mov_b32_e32 v91, v137
	v_fmac_f32_e32 v91, 0xbe750f2a, v109
	v_mul_f32_e32 v138, 0x3f62ad3f, v110
	v_add_f32_e32 v90, v91, v90
	v_mov_b32_e32 v91, v138
	v_fmac_f32_e32 v91, 0xbeedf032, v112
	v_mul_f32_e32 v139, 0xbeb58ec6, v113
	v_add_f32_e32 v90, v91, v90
	v_mov_b32_e32 v91, v139
	v_fmac_f32_e32 v91, 0x3f6f5d39, v115
	v_mul_f32_e32 v140, 0xbf29c268, v117
	v_add_f32_e32 v91, v91, v90
	v_mov_b32_e32 v90, v140
	v_mul_f32_e32 v141, 0x3f7e222b, v120
	v_fmac_f32_e32 v90, 0xbf3f9e67, v116
	v_mov_b32_e32 v92, v141
	v_add_f32_e32 v90, v8, v90
	v_fmac_f32_e32 v92, 0x3df6dbef, v119
	v_mul_f32_e32 v142, 0xbf52af12, v123
	v_add_f32_e32 v90, v92, v90
	v_mov_b32_e32 v92, v142
	v_fmac_f32_e32 v92, 0x3f116cb1, v122
	v_mul_f32_e32 v143, 0x3e750f2a, v126
	v_add_f32_e32 v90, v92, v90
	v_mov_b32_e32 v92, v143
	v_fmac_f32_e32 v92, 0xbf788fa5, v125
	v_mul_f32_e32 v144, 0x3eedf032, v129
	v_add_f32_e32 v90, v92, v90
	v_mov_b32_e32 v92, v144
	v_fmac_f32_e32 v92, 0x3f62ad3f, v128
	v_mul_f32_e32 v145, 0xbf6f5d39, v132
	;; [unrolled: 24-line block ×3, first 2 shown]
	v_add_f32_e32 v92, v93, v92
	v_mov_b32_e32 v93, v151
	v_fmac_f32_e32 v93, 0xbf52af12, v115
	v_mul_f32_e32 v152, 0xbf6f5d39, v117
	v_add_f32_e32 v93, v93, v92
	v_mov_b32_e32 v92, v152
	v_mul_f32_e32 v153, 0x3f29c268, v120
	v_fmac_f32_e32 v92, 0xbeb58ec6, v116
	v_mov_b32_e32 v94, v153
	v_add_f32_e32 v11, v11, v9
	v_add_f32_e32 v92, v8, v92
	v_fmac_f32_e32 v94, 0xbf3f9e67, v119
	v_mul_f32_e32 v154, 0x3eedf032, v123
	v_add_f32_e32 v11, v13, v11
	v_add_f32_e32 v92, v94, v92
	v_mov_b32_e32 v94, v154
	v_add_f32_e32 v11, v15, v11
	v_fmac_f32_e32 v94, 0x3f62ad3f, v122
	v_mul_f32_e32 v155, 0xbf7e222b, v126
	v_add_f32_e32 v11, v17, v11
	v_add_f32_e32 v92, v94, v92
	v_mov_b32_e32 v94, v155
	;; [unrolled: 6-line block ×5, first 2 shown]
	v_mul_f32_e32 v159, 0xbf788fa5, v99
	v_add_f32_e32 v1, v3, v1
	v_add_f32_e32 v3, v10, v8
	v_fmac_f32_e32 v94, 0x3f7e222b, v101
	v_mov_b32_e32 v95, v159
	v_add_f32_e32 v3, v12, v3
	v_add_f32_e32 v94, v9, v94
	v_fmac_f32_e32 v95, 0x3e750f2a, v103
	v_mul_f32_e32 v160, 0xbeb58ec6, v104
	v_add_f32_e32 v3, v14, v3
	v_add_f32_e32 v94, v95, v94
	v_mov_b32_e32 v95, v160
	v_add_f32_e32 v3, v16, v3
	v_fmac_f32_e32 v95, 0xbf6f5d39, v106
	v_mul_f32_e32 v161, 0x3f62ad3f, v107
	v_add_f32_e32 v3, v18, v3
	v_add_f32_e32 v94, v95, v94
	v_mov_b32_e32 v95, v161
	;; [unrolled: 6-line block ×4, first 2 shown]
	v_add_f32_e32 v0, v0, v3
	v_fmac_f32_e32 v100, 0xbe750f2a, v101
	v_fmac_f32_e32 v95, 0x3f29c268, v115
	v_mul_f32_e32 v164, 0xbf7e222b, v117
	v_add_f32_e32 v0, v2, v0
	v_add_f32_e32 v2, v9, v100
	v_fmac_f32_e32 v102, 0x3eedf032, v103
	v_add_f32_e32 v95, v95, v94
	v_mov_b32_e32 v94, v164
	v_mul_f32_e32 v165, 0xbe750f2a, v120
	v_add_f32_e32 v2, v102, v2
	v_fmac_f32_e32 v105, 0xbf29c268, v106
	v_fmac_f32_e32 v94, 0x3df6dbef, v116
	v_mov_b32_e32 v96, v165
	v_add_f32_e32 v2, v105, v2
	v_fmac_f32_e32 v108, 0x3f52af12, v109
	v_add_f32_e32 v94, v8, v94
	v_fmac_f32_e32 v96, 0xbf788fa5, v119
	v_mul_f32_e32 v166, 0x3f6f5d39, v123
	v_add_f32_e32 v2, v108, v2
	v_fmac_f32_e32 v111, 0xbf6f5d39, v112
	s_mov_b32 s2, 0xbf788fa5
	v_add_f32_e32 v94, v96, v94
	v_mov_b32_e32 v96, v166
	v_add_f32_e32 v2, v111, v2
	v_fmac_f32_e32 v114, 0x3f7e222b, v115
	s_mov_b32 s8, 0x3f62ad3f
	v_fmac_f32_e32 v96, 0xbeb58ec6, v122
	v_mul_f32_e32 v167, 0x3eedf032, v126
	v_add_f32_e32 v3, v114, v2
	v_fma_f32 v2, v116, s2, -v118
	s_mov_b32 s3, 0xbf3f9e67
	v_add_f32_e32 v94, v96, v94
	v_mov_b32_e32 v96, v167
	v_add_f32_e32 v2, v8, v2
	v_fma_f32 v4, v119, s8, -v121
	s_mov_b32 s9, 0x3f116cb1
	v_fmac_f32_e32 v96, 0x3f62ad3f, v125
	v_mul_f32_e32 v168, 0xbf52af12, v129
	v_add_f32_e32 v2, v4, v2
	v_fma_f32 v4, v122, s3, -v124
	s_mov_b32 s10, 0xbeb58ec6
	v_add_f32_e32 v94, v96, v94
	v_mov_b32_e32 v96, v168
	v_add_f32_e32 v2, v4, v2
	v_fma_f32 v4, v125, s9, -v127
	s_mov_b32 s11, 0x3df6dbef
	v_fmac_f32_e32 v96, 0x3f116cb1, v128
	v_mul_f32_e32 v169, 0xbf29c268, v132
	v_add_f32_e32 v2, v4, v2
	v_fma_f32 v4, v128, s10, -v130
	v_add_f32_e32 v94, v96, v94
	v_mov_b32_e32 v96, v169
	v_add_f32_e32 v2, v4, v2
	v_fma_f32 v4, v131, s11, -v133
	v_fmac_f32_e32 v134, 0xbf29c268, v101
	v_fmac_f32_e32 v96, 0xbf3f9e67, v131
	v_mul_f32_e32 v170, 0x3f116cb1, v98
	v_add_f32_e32 v2, v4, v2
	v_add_f32_e32 v4, v9, v134
	v_fmac_f32_e32 v135, 0x3f7e222b, v103
	v_add_f32_e32 v94, v96, v94
	v_mov_b32_e32 v96, v170
	v_mul_f32_e32 v171, 0xbeb58ec6, v99
	v_add_f32_e32 v4, v135, v4
	v_fmac_f32_e32 v136, 0xbf52af12, v106
	v_fmac_f32_e32 v96, 0x3f52af12, v101
	v_mov_b32_e32 v97, v171
	v_add_f32_e32 v4, v136, v4
	v_fmac_f32_e32 v137, 0x3e750f2a, v109
	v_add_f32_e32 v96, v9, v96
	v_fmac_f32_e32 v97, 0x3f6f5d39, v103
	v_mul_f32_e32 v172, 0xbf788fa5, v104
	v_add_f32_e32 v4, v137, v4
	v_fmac_f32_e32 v138, 0x3eedf032, v112
	v_add_f32_e32 v96, v97, v96
	v_mov_b32_e32 v97, v172
	v_add_f32_e32 v4, v138, v4
	v_fmac_f32_e32 v139, 0xbf6f5d39, v115
	v_fmac_f32_e32 v97, 0x3e750f2a, v106
	v_mul_f32_e32 v173, 0xbf3f9e67, v107
	v_add_f32_e32 v5, v139, v4
	v_fma_f32 v4, v116, s3, -v140
	v_add_f32_e32 v96, v97, v96
	v_mov_b32_e32 v97, v173
	v_add_f32_e32 v4, v8, v4
	v_fma_f32 v6, v119, s11, -v141
	v_fmac_f32_e32 v97, 0xbf29c268, v109
	v_mul_f32_e32 v174, 0x3df6dbef, v110
	v_add_f32_e32 v4, v6, v4
	v_fma_f32 v6, v122, s9, -v142
	v_add_f32_e32 v96, v97, v96
	v_mov_b32_e32 v97, v174
	v_add_f32_e32 v4, v6, v4
	v_fma_f32 v6, v125, s2, -v143
	;; [unrolled: 8-line block ×3, first 2 shown]
	v_fmac_f32_e32 v146, 0xbf6f5d39, v101
	v_fmac_f32_e32 v97, 0xbeedf032, v115
	v_mul_f32_e32 v176, 0xbf52af12, v117
	v_add_f32_e32 v4, v6, v4
	v_add_f32_e32 v6, v9, v146
	v_fmac_f32_e32 v147, 0x3f29c268, v103
	v_add_f32_e32 v97, v97, v96
	v_mov_b32_e32 v96, v176
	v_mul_f32_e32 v177, 0xbf6f5d39, v120
	v_add_f32_e32 v6, v147, v6
	v_fmac_f32_e32 v148, 0x3eedf032, v106
	v_fmac_f32_e32 v96, 0x3f116cb1, v116
	v_mov_b32_e32 v178, v177
	v_add_f32_e32 v6, v148, v6
	v_fmac_f32_e32 v149, 0xbf7e222b, v109
	v_add_f32_e32 v96, v8, v96
	v_fmac_f32_e32 v178, 0xbeb58ec6, v119
	;; [unrolled: 2-line block ×3, first 2 shown]
	v_add_f32_e32 v96, v178, v96
	v_mul_f32_e32 v178, 0xbe750f2a, v123
	v_add_f32_e32 v6, v150, v6
	v_fmac_f32_e32 v151, 0x3f52af12, v115
	v_mov_b32_e32 v179, v178
	v_add_f32_e32 v7, v151, v6
	v_fma_f32 v6, v116, s10, -v152
	v_fmac_f32_e32 v179, 0xbf788fa5, v122
	v_add_f32_e32 v6, v8, v6
	v_fma_f32 v10, v119, s3, -v153
	v_add_f32_e32 v96, v179, v96
	v_mul_f32_e32 v179, 0x3f29c268, v126
	v_add_f32_e32 v6, v10, v6
	v_fma_f32 v10, v122, s8, -v154
	v_mov_b32_e32 v180, v179
	v_add_f32_e32 v6, v10, v6
	v_fma_f32 v10, v125, s11, -v155
	v_fmac_f32_e32 v180, 0xbf3f9e67, v125
	v_add_f32_e32 v6, v10, v6
	v_fma_f32 v10, v128, s2, -v156
	v_add_f32_e32 v96, v180, v96
	v_mul_f32_e32 v180, 0x3f7e222b, v129
	v_add_f32_e32 v6, v10, v6
	v_fma_f32 v10, v131, s9, -v157
	v_fmac_f32_e32 v158, 0xbf7e222b, v101
	v_mov_b32_e32 v181, v180
	v_add_f32_e32 v6, v10, v6
	v_add_f32_e32 v10, v9, v158
	v_fmac_f32_e32 v159, 0xbe750f2a, v103
	v_fmac_f32_e32 v181, 0x3df6dbef, v128
	v_add_f32_e32 v10, v159, v10
	v_fmac_f32_e32 v160, 0x3f6f5d39, v106
	v_add_f32_e32 v96, v181, v96
	v_mul_f32_e32 v181, 0x3eedf032, v132
	v_add_f32_e32 v10, v160, v10
	v_fmac_f32_e32 v161, 0x3eedf032, v109
	v_mov_b32_e32 v182, v181
	v_add_f32_e32 v10, v161, v10
	v_fmac_f32_e32 v162, 0xbf52af12, v112
	v_fmac_f32_e32 v182, 0x3f62ad3f, v131
	v_add_f32_e32 v10, v162, v10
	v_fmac_f32_e32 v163, 0xbf29c268, v115
	v_add_f32_e32 v96, v182, v96
	v_mul_f32_e32 v182, 0x3f62ad3f, v98
	v_add_f32_e32 v11, v163, v10
	v_fma_f32 v10, v116, s11, -v164
	v_mov_b32_e32 v98, v182
	v_mul_f32_e32 v183, 0x3f116cb1, v99
	v_add_f32_e32 v10, v8, v10
	v_fma_f32 v12, v119, s2, -v165
	v_fmac_f32_e32 v98, 0x3eedf032, v101
	v_mov_b32_e32 v99, v183
	v_add_f32_e32 v10, v12, v10
	v_fma_f32 v12, v122, s10, -v166
	v_add_f32_e32 v98, v9, v98
	v_fmac_f32_e32 v99, 0x3f52af12, v103
	v_mul_f32_e32 v104, 0x3df6dbef, v104
	v_add_f32_e32 v10, v12, v10
	v_fma_f32 v12, v125, s8, -v167
	v_add_f32_e32 v98, v99, v98
	v_mov_b32_e32 v99, v104
	v_add_f32_e32 v10, v12, v10
	v_fma_f32 v12, v128, s9, -v168
	v_fmac_f32_e32 v99, 0x3f7e222b, v106
	v_mul_f32_e32 v107, 0xbeb58ec6, v107
	v_add_f32_e32 v10, v12, v10
	v_fma_f32 v12, v131, s3, -v169
	v_fmac_f32_e32 v170, 0xbf52af12, v101
	v_add_f32_e32 v98, v99, v98
	v_mov_b32_e32 v99, v107
	v_add_f32_e32 v10, v12, v10
	v_add_f32_e32 v12, v9, v170
	v_fmac_f32_e32 v171, 0xbf6f5d39, v103
	v_fmac_f32_e32 v99, 0x3f6f5d39, v109
	v_mul_f32_e32 v110, 0xbf3f9e67, v110
	v_add_f32_e32 v12, v171, v12
	v_fmac_f32_e32 v172, 0xbe750f2a, v106
	v_add_f32_e32 v98, v99, v98
	v_mov_b32_e32 v99, v110
	v_add_f32_e32 v12, v172, v12
	v_fmac_f32_e32 v173, 0x3f29c268, v109
	v_fmac_f32_e32 v99, 0x3f29c268, v112
	v_mul_f32_e32 v113, 0xbf788fa5, v113
	v_add_f32_e32 v12, v173, v12
	v_fmac_f32_e32 v174, 0x3f7e222b, v112
	v_add_f32_e32 v98, v99, v98
	v_mov_b32_e32 v99, v113
	v_add_f32_e32 v12, v174, v12
	v_fmac_f32_e32 v175, 0x3eedf032, v115
	v_fmac_f32_e32 v99, 0x3e750f2a, v115
	v_mul_f32_e32 v117, 0xbeedf032, v117
	v_add_f32_e32 v13, v175, v12
	v_fma_f32 v12, v116, s9, -v176
	v_add_f32_e32 v99, v99, v98
	v_mov_b32_e32 v98, v117
	v_mul_f32_e32 v120, 0xbf52af12, v120
	v_add_f32_e32 v12, v8, v12
	v_fma_f32 v14, v119, s10, -v177
	v_fmac_f32_e32 v98, 0x3f62ad3f, v116
	v_mov_b32_e32 v184, v120
	v_add_f32_e32 v12, v14, v12
	v_fma_f32 v14, v122, s2, -v178
	v_add_f32_e32 v98, v8, v98
	v_fmac_f32_e32 v184, 0x3f116cb1, v119
	v_mul_f32_e32 v123, 0xbf7e222b, v123
	v_add_f32_e32 v12, v14, v12
	v_fma_f32 v14, v125, s3, -v179
	v_add_f32_e32 v98, v184, v98
	v_mov_b32_e32 v184, v123
	v_add_f32_e32 v12, v14, v12
	v_fma_f32 v14, v128, s11, -v180
	v_fmac_f32_e32 v184, 0x3df6dbef, v122
	v_mul_f32_e32 v126, 0xbf6f5d39, v126
	v_add_f32_e32 v12, v14, v12
	v_fma_f32 v14, v131, s8, -v181
	v_add_f32_e32 v98, v184, v98
	v_mov_b32_e32 v184, v126
	v_add_f32_e32 v12, v14, v12
	v_fma_f32 v14, v116, s8, -v117
	v_fmac_f32_e32 v184, 0xbeb58ec6, v125
	v_mul_f32_e32 v129, 0xbf29c268, v129
	v_fmac_f32_e32 v182, 0xbeedf032, v101
	v_add_f32_e32 v8, v8, v14
	v_fma_f32 v14, v119, s9, -v120
	v_add_f32_e32 v98, v184, v98
	v_mov_b32_e32 v184, v129
	v_add_f32_e32 v9, v9, v182
	v_fmac_f32_e32 v183, 0xbf52af12, v103
	v_add_f32_e32 v8, v14, v8
	v_fma_f32 v14, v122, s11, -v123
	v_fmac_f32_e32 v184, 0xbf3f9e67, v128
	v_mul_f32_e32 v132, 0xbe750f2a, v132
	v_add_f32_e32 v9, v183, v9
	v_fmac_f32_e32 v104, 0xbf7e222b, v106
	v_add_f32_e32 v8, v14, v8
	v_fma_f32 v14, v125, s10, -v126
	v_add_f32_e32 v98, v184, v98
	v_mov_b32_e32 v184, v132
	v_add_f32_e32 v9, v104, v9
	v_fmac_f32_e32 v107, 0xbf6f5d39, v109
	v_add_f32_e32 v8, v14, v8
	v_fma_f32 v14, v128, s3, -v129
	v_fmac_f32_e32 v184, 0xbf788fa5, v131
	v_add_f32_e32 v9, v107, v9
	v_fmac_f32_e32 v110, 0xbf29c268, v112
	v_add_f32_e32 v8, v14, v8
	v_fma_f32 v14, v131, s2, -v132
	v_add_f32_e32 v98, v184, v98
	v_add_f32_e32 v1, v34, v1
	;; [unrolled: 1-line block ×4, first 2 shown]
	v_fmac_f32_e32 v113, 0xbe750f2a, v115
	v_add_f32_e32 v8, v14, v8
	v_lshlrev_b32_e32 v14, 3, v73
	v_add_f32_e32 v9, v113, v9
	ds_write2_b64 v14, v[0:1], v[98:99] offset1:1
	ds_write2_b64 v14, v[96:97], v[94:95] offset0:2 offset1:3
	ds_write2_b64 v14, v[92:93], v[90:91] offset0:4 offset1:5
	;; [unrolled: 1-line block ×5, first 2 shown]
	ds_write_b64 v14, v[8:9] offset:96
.LBB0_13:
	s_or_b64 exec, exec, s[0:1]
	v_add_u32_e32 v16, 0xc00, v72
	s_waitcnt lgkmcnt(0)
	s_barrier
	ds_read2_b64 v[4:7], v16 offset0:32 offset1:136
	v_add_u32_e32 v18, 0x1000, v72
	ds_read2_b64 v[12:15], v18 offset0:112 offset1:216
	v_add_u32_e32 v17, 0x400, v72
	ds_read2_b64 v[0:3], v72 offset1:104
	s_waitcnt lgkmcnt(2)
	v_mul_f32_e32 v19, v31, v5
	ds_read2_b64 v[8:11], v17 offset0:80 offset1:184
	v_fmac_f32_e32 v19, v30, v4
	v_mul_f32_e32 v4, v31, v4
	v_fma_f32 v5, v30, v5, -v4
	v_mul_f32_e32 v4, v29, v6
	v_mul_f32_e32 v20, v29, v7
	v_fma_f32 v7, v28, v7, -v4
	s_waitcnt lgkmcnt(2)
	v_mul_f32_e32 v4, v27, v12
	v_mul_f32_e32 v21, v27, v13
	v_fma_f32 v13, v26, v13, -v4
	v_mul_f32_e32 v22, v25, v15
	v_mul_f32_e32 v4, v25, v14
	v_fmac_f32_e32 v20, v28, v6
	v_fmac_f32_e32 v21, v26, v12
	;; [unrolled: 1-line block ×3, first 2 shown]
	v_fma_f32 v15, v24, v15, -v4
	s_waitcnt lgkmcnt(1)
	v_sub_f32_e32 v4, v0, v19
	v_sub_f32_e32 v5, v1, v5
	;; [unrolled: 1-line block ×4, first 2 shown]
	s_waitcnt lgkmcnt(0)
	v_sub_f32_e32 v12, v8, v21
	v_sub_f32_e32 v13, v9, v13
	;; [unrolled: 1-line block ×4, first 2 shown]
	v_fma_f32 v0, v0, 2.0, -v4
	v_fma_f32 v1, v1, 2.0, -v5
	;; [unrolled: 1-line block ×8, first 2 shown]
	s_barrier
	ds_write2_b64 v77, v[0:1], v[4:5] offset1:13
	ds_write2_b64 v76, v[2:3], v[6:7] offset1:13
	;; [unrolled: 1-line block ×4, first 2 shown]
	s_waitcnt lgkmcnt(0)
	s_barrier
	ds_read2_b64 v[0:3], v16 offset0:32 offset1:136
	ds_read2_b64 v[4:7], v72 offset1:104
	ds_read2_b64 v[8:11], v17 offset0:80 offset1:184
	ds_read2_b64 v[12:15], v18 offset0:112 offset1:216
	s_waitcnt lgkmcnt(0)
	v_mul_f32_e32 v19, v42, v1
	v_fmac_f32_e32 v19, v41, v0
	v_mul_f32_e32 v0, v42, v0
	v_fma_f32 v1, v41, v1, -v0
	v_mul_f32_e32 v0, v40, v2
	v_fma_f32 v21, v39, v3, -v0
	v_mul_f32_e32 v0, v38, v12
	v_mul_f32_e32 v20, v40, v3
	;; [unrolled: 1-line block ×3, first 2 shown]
	v_fma_f32 v13, v37, v13, -v0
	v_mul_f32_e32 v23, v36, v15
	v_mul_f32_e32 v0, v36, v14
	v_fmac_f32_e32 v20, v39, v2
	v_fmac_f32_e32 v22, v37, v12
	;; [unrolled: 1-line block ×3, first 2 shown]
	v_fma_f32 v15, v35, v15, -v0
	v_sub_f32_e32 v0, v4, v19
	v_sub_f32_e32 v1, v5, v1
	v_fma_f32 v2, v4, 2.0, -v0
	v_fma_f32 v3, v5, 2.0, -v1
	v_sub_f32_e32 v4, v6, v20
	v_sub_f32_e32 v5, v7, v21
	;; [unrolled: 1-line block ×6, first 2 shown]
	v_fma_f32 v6, v6, 2.0, -v4
	v_fma_f32 v7, v7, 2.0, -v5
	;; [unrolled: 1-line block ×6, first 2 shown]
	s_barrier
	ds_write2_b64 v81, v[2:3], v[0:1] offset1:26
	ds_write2_b64 v80, v[6:7], v[4:5] offset1:26
	;; [unrolled: 1-line block ×4, first 2 shown]
	s_waitcnt lgkmcnt(0)
	s_barrier
	ds_read2_b64 v[0:3], v16 offset0:32 offset1:136
	ds_read2_b64 v[4:7], v72 offset1:104
	ds_read2_b64 v[8:11], v17 offset0:80 offset1:184
	ds_read2_b64 v[12:15], v18 offset0:112 offset1:216
	s_waitcnt lgkmcnt(0)
	v_mul_f32_e32 v19, v50, v1
	v_fmac_f32_e32 v19, v49, v0
	v_mul_f32_e32 v0, v50, v0
	v_fma_f32 v1, v49, v1, -v0
	v_mul_f32_e32 v0, v48, v2
	v_fma_f32 v21, v47, v3, -v0
	v_mul_f32_e32 v0, v46, v12
	v_mul_f32_e32 v20, v48, v3
	;; [unrolled: 1-line block ×3, first 2 shown]
	v_fma_f32 v13, v45, v13, -v0
	v_mul_f32_e32 v23, v44, v15
	v_mul_f32_e32 v0, v44, v14
	v_fmac_f32_e32 v20, v47, v2
	v_fmac_f32_e32 v22, v45, v12
	;; [unrolled: 1-line block ×3, first 2 shown]
	v_fma_f32 v15, v43, v15, -v0
	v_sub_f32_e32 v0, v4, v19
	v_sub_f32_e32 v1, v5, v1
	v_fma_f32 v2, v4, 2.0, -v0
	v_fma_f32 v3, v5, 2.0, -v1
	v_sub_f32_e32 v4, v6, v20
	v_sub_f32_e32 v5, v7, v21
	;; [unrolled: 1-line block ×6, first 2 shown]
	v_fma_f32 v6, v6, 2.0, -v4
	v_fma_f32 v7, v7, 2.0, -v5
	;; [unrolled: 1-line block ×6, first 2 shown]
	s_barrier
	ds_write2_b64 v87, v[2:3], v[0:1] offset1:52
	ds_write2_b64 v86, v[6:7], v[4:5] offset1:52
	ds_write2_b64 v85, v[8:9], v[12:13] offset1:52
	ds_write2_b64 v84, v[10:11], v[14:15] offset1:52
	s_waitcnt lgkmcnt(0)
	s_barrier
	ds_read2_b64 v[0:3], v16 offset0:32 offset1:136
	ds_read2_b64 v[4:7], v72 offset1:104
	ds_read2_b64 v[8:11], v17 offset0:80 offset1:184
	ds_read2_b64 v[12:15], v18 offset0:112 offset1:216
	s_waitcnt lgkmcnt(0)
	v_mul_f32_e32 v19, v54, v1
	v_fmac_f32_e32 v19, v53, v0
	v_mul_f32_e32 v0, v54, v0
	v_fma_f32 v1, v53, v1, -v0
	v_mul_f32_e32 v0, v54, v2
	v_fma_f32 v21, v53, v3, -v0
	v_mul_f32_e32 v0, v52, v12
	v_mul_f32_e32 v20, v54, v3
	;; [unrolled: 1-line block ×3, first 2 shown]
	v_fma_f32 v13, v51, v13, -v0
	v_mul_f32_e32 v0, v56, v14
	v_fmac_f32_e32 v20, v53, v2
	v_fmac_f32_e32 v22, v51, v12
	v_mul_f32_e32 v23, v56, v15
	v_fma_f32 v15, v55, v15, -v0
	v_sub_f32_e32 v0, v4, v19
	v_sub_f32_e32 v1, v5, v1
	v_fmac_f32_e32 v23, v55, v14
	v_fma_f32 v2, v4, 2.0, -v0
	v_fma_f32 v3, v5, 2.0, -v1
	v_sub_f32_e32 v4, v6, v20
	v_sub_f32_e32 v5, v7, v21
	;; [unrolled: 1-line block ×4, first 2 shown]
	v_fma_f32 v6, v6, 2.0, -v4
	v_fma_f32 v7, v7, 2.0, -v5
	;; [unrolled: 1-line block ×4, first 2 shown]
	v_sub_f32_e32 v14, v10, v23
	v_sub_f32_e32 v15, v11, v15
	s_barrier
	ds_write2_b64 v72, v[2:3], v[0:1] offset1:104
	ds_write2_b64 v17, v[6:7], v[4:5] offset0:80 offset1:184
	v_add_u32_e32 v0, 0xc00, v82
	v_fma_f32 v10, v10, 2.0, -v14
	v_fma_f32 v11, v11, 2.0, -v15
	ds_write2_b64 v0, v[8:9], v[12:13] offset0:32 offset1:136
	v_add_u32_e32 v0, 0x1000, v83
	ds_write2_b64 v0, v[10:11], v[14:15] offset0:112 offset1:216
	s_waitcnt lgkmcnt(0)
	s_barrier
	ds_read2_b64 v[0:3], v16 offset0:32 offset1:136
	ds_read2_b64 v[4:7], v72 offset1:104
	ds_read2_b64 v[8:11], v17 offset0:80 offset1:184
	ds_read2_b64 v[12:15], v18 offset0:112 offset1:216
	s_waitcnt lgkmcnt(0)
	v_mul_f32_e32 v19, v58, v1
	v_fmac_f32_e32 v19, v57, v0
	v_mul_f32_e32 v0, v58, v0
	v_fma_f32 v1, v57, v1, -v0
	v_mul_f32_e32 v0, v60, v2
	v_fma_f32 v21, v59, v3, -v0
	v_mul_f32_e32 v0, v58, v12
	v_mul_f32_e32 v20, v60, v3
	;; [unrolled: 1-line block ×3, first 2 shown]
	v_fma_f32 v13, v57, v13, -v0
	v_mul_f32_e32 v23, v60, v15
	v_mul_f32_e32 v0, v60, v14
	v_fmac_f32_e32 v20, v59, v2
	v_fmac_f32_e32 v22, v57, v12
	v_fmac_f32_e32 v23, v59, v14
	v_fma_f32 v15, v59, v15, -v0
	v_sub_f32_e32 v0, v4, v19
	v_sub_f32_e32 v1, v5, v1
	v_fma_f32 v2, v4, 2.0, -v0
	v_fma_f32 v3, v5, 2.0, -v1
	v_sub_f32_e32 v4, v6, v20
	v_sub_f32_e32 v5, v7, v21
	;; [unrolled: 1-line block ×6, first 2 shown]
	v_fma_f32 v6, v6, 2.0, -v4
	v_fma_f32 v7, v7, 2.0, -v5
	;; [unrolled: 1-line block ×6, first 2 shown]
	s_barrier
	ds_write2_b64 v72, v[2:3], v[6:7] offset1:104
	ds_write2_b64 v17, v[0:1], v[4:5] offset0:80 offset1:184
	ds_write2_b64 v16, v[8:9], v[10:11] offset0:32 offset1:136
	;; [unrolled: 1-line block ×3, first 2 shown]
	s_waitcnt lgkmcnt(0)
	s_barrier
	ds_read2_b64 v[0:3], v16 offset0:32 offset1:136
	ds_read2_b64 v[4:7], v72 offset1:104
	ds_read2_b64 v[8:11], v17 offset0:80 offset1:184
	ds_read2_b64 v[12:15], v18 offset0:112 offset1:216
	s_waitcnt lgkmcnt(3)
	v_mul_f32_e32 v19, v62, v1
	v_fmac_f32_e32 v19, v61, v0
	v_mul_f32_e32 v0, v62, v0
	v_fma_f32 v1, v61, v1, -v0
	v_mul_f32_e32 v0, v64, v2
	v_fma_f32 v21, v63, v3, -v0
	s_waitcnt lgkmcnt(0)
	v_mul_f32_e32 v0, v66, v12
	v_mul_f32_e32 v20, v64, v3
	;; [unrolled: 1-line block ×3, first 2 shown]
	v_fma_f32 v13, v65, v13, -v0
	v_mul_f32_e32 v0, v68, v14
	v_fmac_f32_e32 v20, v63, v2
	v_mul_f32_e32 v23, v68, v15
	v_fma_f32 v15, v67, v15, -v0
	v_sub_f32_e32 v0, v4, v19
	v_sub_f32_e32 v1, v5, v1
	v_fmac_f32_e32 v22, v65, v12
	v_fmac_f32_e32 v23, v67, v14
	v_fma_f32 v2, v4, 2.0, -v0
	v_fma_f32 v3, v5, 2.0, -v1
	v_sub_f32_e32 v4, v6, v20
	v_sub_f32_e32 v5, v7, v21
	v_fma_f32 v6, v6, 2.0, -v4
	v_fma_f32 v7, v7, 2.0, -v5
	v_sub_f32_e32 v12, v8, v22
	v_sub_f32_e32 v13, v9, v13
	;; [unrolled: 1-line block ×4, first 2 shown]
	v_fma_f32 v8, v8, 2.0, -v12
	v_fma_f32 v9, v9, 2.0, -v13
	;; [unrolled: 1-line block ×4, first 2 shown]
	ds_write2_b64 v72, v[2:3], v[6:7] offset1:104
	ds_write2_b64 v16, v[0:1], v[4:5] offset0:32 offset1:136
	ds_write2_b64 v17, v[8:9], v[10:11] offset0:80 offset1:184
	;; [unrolled: 1-line block ×3, first 2 shown]
	s_waitcnt lgkmcnt(0)
	s_barrier
	s_and_b64 exec, exec, vcc
	s_cbranch_execz .LBB0_15
; %bb.14:
	global_load_dwordx2 v[8:9], v69, s[12:13]
	global_load_dwordx2 v[10:11], v69, s[12:13] offset:512
	global_load_dwordx2 v[12:13], v69, s[12:13] offset:1024
	;; [unrolled: 1-line block ×3, first 2 shown]
	ds_read_b64 v[18:19], v72
	ds_read2st64_b64 v[0:3], v69 offset0:1 offset1:2
	ds_read2st64_b64 v[4:7], v69 offset0:3 offset1:4
	global_load_dwordx2 v[24:25], v69, s[12:13] offset:2048
	global_load_dwordx2 v[26:27], v69, s[12:13] offset:2560
	v_mad_u64_u32 v[16:17], s[0:1], s6, v32, 0
	v_mad_u64_u32 v[20:21], s[2:3], s4, v70, 0
	v_mad_u64_u32 v[22:23], s[2:3], s4, v71, 0
	v_or_b32_e32 v34, 0x80, v70
	v_mad_u64_u32 v[28:29], s[2:3], s4, v34, 0
	s_waitcnt lgkmcnt(2)
	v_mad_u64_u32 v[30:31], s[2:3], s7, v32, v[17:18]
	v_mad_u64_u32 v[31:32], s[2:3], s5, v70, v[21:22]
	v_mov_b32_e32 v17, v29
	v_mov_b32_e32 v35, s15
	;; [unrolled: 1-line block ×3, first 2 shown]
	v_lshlrev_b64 v[20:21], 3, v[20:21]
	s_mov_b32 s0, 0x13b13b14
	s_mov_b32 s1, 0x3f53b13b
	v_or_b32_e32 v36, 0xc0, v70
	s_waitcnt vmcnt(1)
	v_mad_u64_u32 v[32:33], s[2:3], s5, v71, v[23:24]
	v_mad_u64_u32 v[33:34], s[2:3], s5, v34, v[17:18]
	v_mov_b32_e32 v17, v30
	v_lshlrev_b64 v[16:17], 3, v[16:17]
	v_mov_b32_e32 v23, v32
	v_add_co_u32_e32 v30, vcc, s14, v16
	v_addc_co_u32_e32 v31, vcc, v35, v17, vcc
	v_lshlrev_b64 v[22:23], 3, v[22:23]
	v_add_co_u32_e32 v16, vcc, v30, v20
	v_mov_b32_e32 v29, v33
	v_addc_co_u32_e32 v17, vcc, v31, v21, vcc
	v_lshlrev_b64 v[28:29], 3, v[28:29]
	v_add_co_u32_e32 v20, vcc, v30, v22
	v_addc_co_u32_e32 v21, vcc, v31, v23, vcc
	v_add_co_u32_e32 v22, vcc, v30, v28
	v_mul_f32_e32 v28, v19, v9
	v_mul_f32_e32 v9, v18, v9
	v_addc_co_u32_e32 v23, vcc, v31, v29, vcc
	s_waitcnt lgkmcnt(1)
	v_mul_f32_e32 v29, v1, v11
	v_mul_f32_e32 v11, v0, v11
	;; [unrolled: 1-line block ×4, first 2 shown]
	v_fmac_f32_e32 v28, v18, v8
	v_fma_f32 v8, v8, v19, -v9
	s_waitcnt lgkmcnt(0)
	v_mul_f32_e32 v33, v5, v15
	v_mul_f32_e32 v15, v4, v15
	v_fmac_f32_e32 v29, v0, v10
	v_fma_f32 v9, v10, v1, -v11
	v_fmac_f32_e32 v32, v2, v12
	v_fma_f32 v12, v12, v3, -v13
	v_cvt_f64_f32_e32 v[0:1], v28
	v_cvt_f64_f32_e32 v[2:3], v8
	v_fmac_f32_e32 v33, v4, v14
	v_fma_f32 v18, v14, v5, -v15
	v_cvt_f64_f32_e32 v[4:5], v29
	v_cvt_f64_f32_e32 v[8:9], v9
	;; [unrolled: 1-line block ×5, first 2 shown]
	v_mul_f64 v[0:1], v[0:1], s[0:1]
	v_mul_f64 v[2:3], v[2:3], s[0:1]
	;; [unrolled: 1-line block ×7, first 2 shown]
	global_load_dwordx2 v[28:29], v69, s[12:13] offset:3072
	v_cvt_f32_f64_e32 v0, v[0:1]
	v_cvt_f32_f64_e32 v1, v[2:3]
	;; [unrolled: 1-line block ×6, first 2 shown]
	global_store_dwordx2 v[16:17], v[0:1], off
	global_store_dwordx2 v[20:21], v[2:3], off
	v_mad_u64_u32 v[0:1], s[2:3], s4, v36, 0
	v_cvt_f32_f64_e32 v2, v[14:15]
	v_cvt_f64_f32_e32 v[18:19], v18
	global_store_dwordx2 v[22:23], v[4:5], off
	v_or_b32_e32 v20, 0x140, v70
	v_mad_u64_u32 v[4:5], s[2:3], s5, v36, v[1:2]
	v_mul_f32_e32 v1, v7, v25
	v_mul_f64 v[18:19], v[18:19], s[0:1]
	v_fmac_f32_e32 v1, v6, v24
	v_cvt_f64_f32_e32 v[10:11], v1
	v_mul_f32_e32 v1, v6, v25
	v_fma_f32 v1, v24, v7, -v1
	v_cvt_f64_f32_e32 v[5:6], v1
	v_mov_b32_e32 v1, v4
	v_lshlrev_b64 v[0:1], 3, v[0:1]
	v_cvt_f32_f64_e32 v3, v[18:19]
	v_mul_f64 v[4:5], v[5:6], s[0:1]
	v_or_b32_e32 v6, 0x100, v70
	v_mad_u64_u32 v[12:13], s[2:3], s4, v6, 0
	v_add_co_u32_e32 v0, vcc, v30, v0
	v_addc_co_u32_e32 v1, vcc, v31, v1, vcc
	global_store_dwordx2 v[0:1], v[2:3], off
	v_mov_b32_e32 v0, v13
	v_mad_u64_u32 v[13:14], s[2:3], s5, v6, v[0:1]
	ds_read2st64_b64 v[0:3], v69 offset0:5 offset1:6
	v_mul_f64 v[10:11], v[10:11], s[0:1]
	v_lshlrev_b64 v[12:13], 3, v[12:13]
	v_mad_u64_u32 v[18:19], s[2:3], s4, v20, 0
	s_waitcnt vmcnt(5) lgkmcnt(0)
	v_mul_f32_e32 v16, v1, v27
	v_fmac_f32_e32 v16, v0, v26
	v_mul_f32_e32 v0, v0, v27
	v_fma_f32 v0, v26, v1, -v0
	v_cvt_f64_f32_e32 v[0:1], v0
	v_cvt_f32_f64_e32 v10, v[10:11]
	v_cvt_f32_f64_e32 v11, v[4:5]
	global_load_dwordx2 v[8:9], v69, s[12:13] offset:3584
	v_mul_f64 v[0:1], v[0:1], s[0:1]
	v_add_co_u32_e32 v12, vcc, v30, v12
	v_addc_co_u32_e32 v13, vcc, v31, v13, vcc
	v_or_b32_e32 v24, 0x200, v70
	global_store_dwordx2 v[12:13], v[10:11], off
	v_or_b32_e32 v26, 0x280, v70
	v_cvt_f32_f64_e32 v11, v[0:1]
	v_mov_b32_e32 v0, v19
	v_lshlrev_b32_e32 v4, 3, v24
	v_mad_u64_u32 v[0:1], s[2:3], s5, v20, v[0:1]
	v_lshlrev_b32_e32 v20, 3, v26
	global_load_dwordx2 v[20:21], v20, s[12:13]
	v_or_b32_e32 v25, 0x240, v70
	global_load_dwordx2 v[14:15], v4, s[12:13]
	v_lshlrev_b32_e32 v1, 3, v25
	global_load_dwordx2 v[12:13], v1, s[12:13]
	v_cvt_f64_f32_e32 v[16:17], v16
	ds_read2st64_b64 v[4:7], v69 offset0:7 offset1:8
	v_mov_b32_e32 v19, v0
	v_lshlrev_b64 v[0:1], 3, v[18:19]
	v_mul_f64 v[16:17], v[16:17], s[0:1]
	v_add_co_u32_e32 v0, vcc, v30, v0
	v_or_b32_e32 v22, 0x180, v70
	v_addc_co_u32_e32 v1, vcc, v31, v1, vcc
	v_mad_u64_u32 v[18:19], s[2:3], s4, v22, 0
	v_cvt_f32_f64_e32 v10, v[16:17]
	s_waitcnt vmcnt(9)
	v_mul_f32_e32 v16, v3, v29
	v_fmac_f32_e32 v16, v2, v28
	v_mul_f32_e32 v2, v2, v29
	v_fma_f32 v2, v28, v3, -v2
	v_cvt_f64_f32_e32 v[2:3], v2
	v_cvt_f64_f32_e32 v[16:17], v16
	global_store_dwordx2 v[0:1], v[10:11], off
	v_or_b32_e32 v27, 0x2c0, v70
	v_mul_f64 v[2:3], v[2:3], s[0:1]
	v_mul_f64 v[16:17], v[16:17], s[0:1]
	v_or_b32_e32 v28, 0x300, v70
	v_cvt_f32_f64_e32 v1, v[2:3]
	v_cvt_f32_f64_e32 v0, v[16:17]
	s_waitcnt vmcnt(5) lgkmcnt(0)
	v_mul_f32_e32 v10, v5, v9
	v_fmac_f32_e32 v10, v4, v8
	v_cvt_f64_f32_e32 v[10:11], v10
	v_mul_f32_e32 v4, v4, v9
	v_fma_f32 v4, v8, v5, -v4
	v_cvt_f64_f32_e32 v[4:5], v4
	v_mul_f64 v[8:9], v[10:11], s[0:1]
	v_lshlrev_b32_e32 v10, 3, v27
	global_load_dwordx2 v[10:11], v10, s[12:13]
	v_mul_f64 v[4:5], v[4:5], s[0:1]
	s_waitcnt vmcnt(4)
	v_mad_u64_u32 v[22:23], s[2:3], s5, v22, v[19:20]
	v_mov_b32_e32 v19, v22
	v_lshlrev_b64 v[2:3], 3, v[18:19]
	v_or_b32_e32 v18, 0x1c0, v70
	v_mad_u64_u32 v[16:17], s[2:3], s4, v18, 0
	v_add_co_u32_e32 v2, vcc, v30, v2
	v_addc_co_u32_e32 v3, vcc, v31, v3, vcc
	global_store_dwordx2 v[2:3], v[0:1], off
	v_mov_b32_e32 v2, v17
	v_mad_u64_u32 v[2:3], s[2:3], s5, v18, v[2:3]
	v_cvt_f32_f64_e32 v1, v[4:5]
	s_waitcnt vmcnt(4)
	v_mul_f32_e32 v3, v7, v15
	v_mul_f32_e32 v5, v6, v15
	v_fmac_f32_e32 v3, v6, v14
	v_fma_f32 v5, v14, v7, -v5
	v_cvt_f64_f32_e32 v[3:4], v3
	v_cvt_f64_f32_e32 v[5:6], v5
	v_mov_b32_e32 v17, v2
	v_cvt_f32_f64_e32 v0, v[8:9]
	v_mul_f64 v[2:3], v[3:4], s[0:1]
	v_mul_f64 v[4:5], v[5:6], s[0:1]
	v_lshlrev_b32_e32 v6, 3, v28
	global_load_dwordx2 v[14:15], v6, s[12:13]
	v_lshlrev_b64 v[7:8], 3, v[16:17]
	v_add_co_u32_e32 v6, vcc, v30, v7
	v_addc_co_u32_e32 v7, vcc, v31, v8, vcc
	global_store_dwordx2 v[6:7], v[0:1], off
	v_mad_u64_u32 v[8:9], s[2:3], s4, v24, 0
	v_cvt_f32_f64_e32 v16, v[2:3]
	ds_read2st64_b64 v[0:3], v69 offset0:9 offset1:10
	v_cvt_f32_f64_e32 v17, v[4:5]
	v_mov_b32_e32 v4, v9
	v_mad_u64_u32 v[18:19], s[2:3], s5, v24, v[4:5]
	ds_read2st64_b64 v[4:7], v69 offset0:11 offset1:12
	s_waitcnt vmcnt(5) lgkmcnt(1)
	v_mul_f32_e32 v9, v1, v13
	v_fmac_f32_e32 v9, v0, v12
	v_mul_f32_e32 v0, v0, v13
	v_fma_f32 v0, v12, v1, -v0
	v_cvt_f64_f32_e32 v[0:1], v0
	v_cvt_f64_f32_e32 v[22:23], v9
	v_mov_b32_e32 v9, v18
	v_lshlrev_b64 v[8:9], 3, v[8:9]
	v_mul_f64 v[0:1], v[0:1], s[0:1]
	v_mul_f64 v[12:13], v[22:23], s[0:1]
	v_mad_u64_u32 v[18:19], s[2:3], s4, v25, 0
	v_add_co_u32_e32 v8, vcc, v30, v8
	v_addc_co_u32_e32 v9, vcc, v31, v9, vcc
	global_store_dwordx2 v[8:9], v[16:17], off
	v_cvt_f32_f64_e32 v9, v[0:1]
	v_mov_b32_e32 v0, v19
	v_mad_u64_u32 v[0:1], s[2:3], s5, v25, v[0:1]
	v_mul_f32_e32 v1, v3, v21
	v_fmac_f32_e32 v1, v2, v20
	v_cvt_f32_f64_e32 v8, v[12:13]
	v_cvt_f64_f32_e32 v[12:13], v1
	v_mul_f32_e32 v1, v2, v21
	v_fma_f32 v1, v20, v3, -v1
	v_cvt_f64_f32_e32 v[1:2], v1
	v_mov_b32_e32 v19, v0
	v_lshlrev_b64 v[16:17], 3, v[18:19]
	v_mul_f64 v[12:13], v[12:13], s[0:1]
	v_mul_f64 v[0:1], v[1:2], s[0:1]
	v_add_co_u32_e32 v2, vcc, v30, v16
	v_addc_co_u32_e32 v3, vcc, v31, v17, vcc
	v_mad_u64_u32 v[16:17], s[2:3], s4, v26, 0
	global_store_dwordx2 v[2:3], v[8:9], off
	v_cvt_f32_f64_e32 v3, v[0:1]
	v_mov_b32_e32 v0, v17
	v_mad_u64_u32 v[0:1], s[2:3], s5, v26, v[0:1]
	s_waitcnt vmcnt(5) lgkmcnt(0)
	v_mul_f32_e32 v1, v5, v11
	v_fmac_f32_e32 v1, v4, v10
	v_cvt_f64_f32_e32 v[8:9], v1
	v_mul_f32_e32 v1, v4, v11
	v_fma_f32 v1, v10, v5, -v1
	v_cvt_f64_f32_e32 v[4:5], v1
	v_mov_b32_e32 v17, v0
	v_cvt_f32_f64_e32 v2, v[12:13]
	v_lshlrev_b64 v[0:1], 3, v[16:17]
	v_mul_f64 v[4:5], v[4:5], s[0:1]
	v_mad_u64_u32 v[10:11], s[2:3], s4, v27, 0
	v_add_co_u32_e32 v0, vcc, v30, v0
	v_addc_co_u32_e32 v1, vcc, v31, v1, vcc
	v_mul_f64 v[8:9], v[8:9], s[0:1]
	global_store_dwordx2 v[0:1], v[2:3], off
	v_mov_b32_e32 v2, v11
	v_mad_u64_u32 v[2:3], s[2:3], s5, v27, v[2:3]
	v_cvt_f32_f64_e32 v1, v[4:5]
	s_waitcnt vmcnt(4)
	v_mul_f32_e32 v3, v7, v15
	v_mul_f32_e32 v5, v6, v15
	v_fmac_f32_e32 v3, v6, v14
	v_fma_f32 v5, v14, v7, -v5
	v_cvt_f64_f32_e32 v[3:4], v3
	v_cvt_f64_f32_e32 v[5:6], v5
	v_mov_b32_e32 v11, v2
	v_cvt_f32_f64_e32 v0, v[8:9]
	v_lshlrev_b64 v[7:8], 3, v[10:11]
	v_mul_f64 v[2:3], v[3:4], s[0:1]
	v_mul_f64 v[4:5], v[5:6], s[0:1]
	v_mad_u64_u32 v[9:10], s[0:1], s4, v28, 0
	v_add_co_u32_e32 v6, vcc, v30, v7
	v_addc_co_u32_e32 v7, vcc, v31, v8, vcc
	v_mov_b32_e32 v8, v10
	v_mad_u64_u32 v[10:11], s[0:1], s5, v28, v[8:9]
	global_store_dwordx2 v[6:7], v[0:1], off
	v_cvt_f32_f64_e32 v0, v[2:3]
	v_cvt_f32_f64_e32 v1, v[4:5]
	v_lshlrev_b64 v[2:3], 3, v[9:10]
	v_add_co_u32_e32 v2, vcc, v30, v2
	v_addc_co_u32_e32 v3, vcc, v31, v3, vcc
	global_store_dwordx2 v[2:3], v[0:1], off
.LBB0_15:
	s_endpgm
	.section	.rodata,"a",@progbits
	.p2align	6, 0x0
	.amdhsa_kernel bluestein_single_back_len832_dim1_sp_op_CI_CI
		.amdhsa_group_segment_fixed_size 6656
		.amdhsa_private_segment_fixed_size 0
		.amdhsa_kernarg_size 104
		.amdhsa_user_sgpr_count 6
		.amdhsa_user_sgpr_private_segment_buffer 1
		.amdhsa_user_sgpr_dispatch_ptr 0
		.amdhsa_user_sgpr_queue_ptr 0
		.amdhsa_user_sgpr_kernarg_segment_ptr 1
		.amdhsa_user_sgpr_dispatch_id 0
		.amdhsa_user_sgpr_flat_scratch_init 0
		.amdhsa_user_sgpr_private_segment_size 0
		.amdhsa_uses_dynamic_stack 0
		.amdhsa_system_sgpr_private_segment_wavefront_offset 0
		.amdhsa_system_sgpr_workgroup_id_x 1
		.amdhsa_system_sgpr_workgroup_id_y 0
		.amdhsa_system_sgpr_workgroup_id_z 0
		.amdhsa_system_sgpr_workgroup_info 0
		.amdhsa_system_vgpr_workitem_id 0
		.amdhsa_next_free_vgpr 185
		.amdhsa_next_free_sgpr 16
		.amdhsa_reserve_vcc 1
		.amdhsa_reserve_flat_scratch 0
		.amdhsa_float_round_mode_32 0
		.amdhsa_float_round_mode_16_64 0
		.amdhsa_float_denorm_mode_32 3
		.amdhsa_float_denorm_mode_16_64 3
		.amdhsa_dx10_clamp 1
		.amdhsa_ieee_mode 1
		.amdhsa_fp16_overflow 0
		.amdhsa_exception_fp_ieee_invalid_op 0
		.amdhsa_exception_fp_denorm_src 0
		.amdhsa_exception_fp_ieee_div_zero 0
		.amdhsa_exception_fp_ieee_overflow 0
		.amdhsa_exception_fp_ieee_underflow 0
		.amdhsa_exception_fp_ieee_inexact 0
		.amdhsa_exception_int_div_zero 0
	.end_amdhsa_kernel
	.text
.Lfunc_end0:
	.size	bluestein_single_back_len832_dim1_sp_op_CI_CI, .Lfunc_end0-bluestein_single_back_len832_dim1_sp_op_CI_CI
                                        ; -- End function
	.section	.AMDGPU.csdata,"",@progbits
; Kernel info:
; codeLenInByte = 13768
; NumSgprs: 20
; NumVgprs: 185
; ScratchSize: 0
; MemoryBound: 0
; FloatMode: 240
; IeeeMode: 1
; LDSByteSize: 6656 bytes/workgroup (compile time only)
; SGPRBlocks: 2
; VGPRBlocks: 46
; NumSGPRsForWavesPerEU: 20
; NumVGPRsForWavesPerEU: 185
; Occupancy: 1
; WaveLimiterHint : 1
; COMPUTE_PGM_RSRC2:SCRATCH_EN: 0
; COMPUTE_PGM_RSRC2:USER_SGPR: 6
; COMPUTE_PGM_RSRC2:TRAP_HANDLER: 0
; COMPUTE_PGM_RSRC2:TGID_X_EN: 1
; COMPUTE_PGM_RSRC2:TGID_Y_EN: 0
; COMPUTE_PGM_RSRC2:TGID_Z_EN: 0
; COMPUTE_PGM_RSRC2:TIDIG_COMP_CNT: 0
	.type	__hip_cuid_6272cbc3de445627,@object ; @__hip_cuid_6272cbc3de445627
	.section	.bss,"aw",@nobits
	.globl	__hip_cuid_6272cbc3de445627
__hip_cuid_6272cbc3de445627:
	.byte	0                               ; 0x0
	.size	__hip_cuid_6272cbc3de445627, 1

	.ident	"AMD clang version 19.0.0git (https://github.com/RadeonOpenCompute/llvm-project roc-6.4.0 25133 c7fe45cf4b819c5991fe208aaa96edf142730f1d)"
	.section	".note.GNU-stack","",@progbits
	.addrsig
	.addrsig_sym __hip_cuid_6272cbc3de445627
	.amdgpu_metadata
---
amdhsa.kernels:
  - .args:
      - .actual_access:  read_only
        .address_space:  global
        .offset:         0
        .size:           8
        .value_kind:     global_buffer
      - .actual_access:  read_only
        .address_space:  global
        .offset:         8
        .size:           8
        .value_kind:     global_buffer
      - .actual_access:  read_only
        .address_space:  global
        .offset:         16
        .size:           8
        .value_kind:     global_buffer
      - .actual_access:  read_only
        .address_space:  global
        .offset:         24
        .size:           8
        .value_kind:     global_buffer
      - .actual_access:  read_only
        .address_space:  global
        .offset:         32
        .size:           8
        .value_kind:     global_buffer
      - .offset:         40
        .size:           8
        .value_kind:     by_value
      - .address_space:  global
        .offset:         48
        .size:           8
        .value_kind:     global_buffer
      - .address_space:  global
        .offset:         56
        .size:           8
        .value_kind:     global_buffer
      - .address_space:  global
        .offset:         64
        .size:           8
        .value_kind:     global_buffer
      - .address_space:  global
        .offset:         72
        .size:           8
        .value_kind:     global_buffer
      - .offset:         80
        .size:           4
        .value_kind:     by_value
      - .address_space:  global
        .offset:         88
        .size:           8
        .value_kind:     global_buffer
      - .address_space:  global
        .offset:         96
        .size:           8
        .value_kind:     global_buffer
    .group_segment_fixed_size: 6656
    .kernarg_segment_align: 8
    .kernarg_segment_size: 104
    .language:       OpenCL C
    .language_version:
      - 2
      - 0
    .max_flat_workgroup_size: 104
    .name:           bluestein_single_back_len832_dim1_sp_op_CI_CI
    .private_segment_fixed_size: 0
    .sgpr_count:     20
    .sgpr_spill_count: 0
    .symbol:         bluestein_single_back_len832_dim1_sp_op_CI_CI.kd
    .uniform_work_group_size: 1
    .uses_dynamic_stack: false
    .vgpr_count:     185
    .vgpr_spill_count: 0
    .wavefront_size: 64
amdhsa.target:   amdgcn-amd-amdhsa--gfx906
amdhsa.version:
  - 1
  - 2
...

	.end_amdgpu_metadata
